;; amdgpu-corpus repo=ROCm/rocFFT kind=compiled arch=gfx1201 opt=O3
	.text
	.amdgcn_target "amdgcn-amd-amdhsa--gfx1201"
	.amdhsa_code_object_version 6
	.protected	bluestein_single_fwd_len1188_dim1_sp_op_CI_CI ; -- Begin function bluestein_single_fwd_len1188_dim1_sp_op_CI_CI
	.globl	bluestein_single_fwd_len1188_dim1_sp_op_CI_CI
	.p2align	8
	.type	bluestein_single_fwd_len1188_dim1_sp_op_CI_CI,@function
bluestein_single_fwd_len1188_dim1_sp_op_CI_CI: ; @bluestein_single_fwd_len1188_dim1_sp_op_CI_CI
; %bb.0:
	s_load_b128 s[16:19], s[0:1], 0x28
	v_mul_u32_u24_e32 v1, 0x3e1, v0
	s_mov_b32 s2, exec_lo
	s_delay_alu instid0(VALU_DEP_1) | instskip(NEXT) | instid1(VALU_DEP_1)
	v_lshrrev_b32_e32 v1, 16, v1
	v_mad_co_u64_u32 v[130:131], null, ttmp9, 3, v[1:2]
	v_mov_b32_e32 v131, 0
                                        ; kill: def $vgpr2 killed $sgpr0 killed $exec
	s_wait_kmcnt 0x0
	s_delay_alu instid0(VALU_DEP_1)
	v_cmpx_gt_u64_e64 s[16:17], v[130:131]
	s_cbranch_execz .LBB0_10
; %bb.1:
	s_clause 0x1
	s_load_b128 s[4:7], s[0:1], 0x18
	s_load_b128 s[8:11], s[0:1], 0x0
	v_mul_lo_u16 v1, 0x42, v1
	s_load_b64 s[0:1], s[0:1], 0x38
                                        ; implicit-def: $vgpr74
                                        ; implicit-def: $vgpr76
                                        ; implicit-def: $vgpr82
	s_delay_alu instid0(VALU_DEP_1) | instskip(NEXT) | instid1(VALU_DEP_1)
	v_sub_nc_u16 v0, v0, v1
	v_and_b32_e32 v179, 0xffff, v0
	v_mul_lo_u16 v43, v0, 6
	s_wait_kmcnt 0x0
	s_load_b128 s[12:15], s[4:5], 0x0
	s_wait_kmcnt 0x0
	v_mad_co_u64_u32 v[1:2], null, s14, v130, 0
	v_mad_co_u64_u32 v[3:4], null, s12, v179, 0
	s_mul_u64 s[2:3], s[12:13], 0x630
	s_mul_i32 s4, s13, 0xffffe320
	s_delay_alu instid0(SALU_CYCLE_1) | instskip(NEXT) | instid1(VALU_DEP_1)
	s_sub_co_i32 s4, s4, s12
	v_mad_co_u64_u32 v[5:6], null, s15, v130, v[2:3]
	s_delay_alu instid0(VALU_DEP_1) | instskip(NEXT) | instid1(VALU_DEP_3)
	v_mov_b32_e32 v2, v5
	v_mad_co_u64_u32 v[6:7], null, s13, v179, v[4:5]
	v_lshlrev_b32_e32 v90, 3, v179
	v_add_co_u32 v85, null, 0x42, v179
	s_delay_alu instid0(VALU_DEP_4)
	v_lshlrev_b64_e32 v[1:2], 3, v[1:2]
	v_add_co_u32 v84, null, 0x84, v179
	v_mov_b32_e32 v4, v6
	s_clause 0x2
	global_load_b64 v[153:154], v90, s[8:9] offset:1584
	global_load_b64 v[151:152], v90, s[8:9] offset:4752
	;; [unrolled: 1-line block ×3, first 2 shown]
	v_add_co_u32 v1, vcc_lo, s18, v1
	v_lshlrev_b64_e32 v[3:4], 3, v[3:4]
	v_add_co_ci_u32_e32 v2, vcc_lo, s19, v2, vcc_lo
	s_clause 0x3
	global_load_b64 v[143:144], v90, s[8:9] offset:7920
	global_load_b64 v[159:160], v90, s[8:9]
	global_load_b64 v[147:148], v90, s[8:9] offset:528
	global_load_b64 v[145:146], v90, s[8:9] offset:2112
	v_add_co_u32 v1, vcc_lo, v1, v3
	s_wait_alu 0xfffd
	v_add_co_ci_u32_e32 v2, vcc_lo, v2, v4, vcc_lo
	s_delay_alu instid0(VALU_DEP_2) | instskip(SKIP_1) | instid1(VALU_DEP_2)
	v_add_co_u32 v3, vcc_lo, v1, s2
	s_wait_alu 0xfffd
	v_add_co_ci_u32_e32 v4, vcc_lo, s3, v2, vcc_lo
	s_delay_alu instid0(VALU_DEP_2) | instskip(SKIP_1) | instid1(VALU_DEP_2)
	v_add_co_u32 v5, vcc_lo, v3, s2
	s_wait_alu 0xfffd
	v_add_co_ci_u32_e32 v6, vcc_lo, s3, v4, vcc_lo
	s_clause 0x1
	global_load_b64 v[15:16], v[1:2], off
	global_load_b64 v[3:4], v[3:4], off
	s_clause 0x1
	global_load_b64 v[157:158], v90, s[8:9] offset:3168
	global_load_b64 v[128:129], v90, s[8:9] offset:3696
	v_add_co_u32 v7, vcc_lo, v5, s2
	s_wait_alu 0xfffd
	v_add_co_ci_u32_e32 v8, vcc_lo, s3, v6, vcc_lo
	s_delay_alu instid0(VALU_DEP_2) | instskip(SKIP_1) | instid1(VALU_DEP_2)
	v_add_co_u32 v9, vcc_lo, v7, s2
	s_wait_alu 0xfffd
	v_add_co_ci_u32_e32 v10, vcc_lo, s3, v8, vcc_lo
	s_clause 0x1
	global_load_b64 v[5:6], v[5:6], off
	global_load_b64 v[7:8], v[7:8], off
	v_add_co_u32 v11, vcc_lo, v9, s2
	s_wait_alu 0xfffd
	v_add_co_ci_u32_e32 v12, vcc_lo, s3, v10, vcc_lo
	global_load_b64 v[9:10], v[9:10], off
	v_mad_co_u64_u32 v[13:14], null, 0xffffe320, s12, v[11:12]
	global_load_b64 v[11:12], v[11:12], off
	v_add_co_u32 v1, vcc_lo, v13, s2
	s_wait_loadcnt 0x7
	v_dual_mul_f32 v39, v16, v160 :: v_dual_add_nc_u32 v14, s4, v14
	s_wait_loadcnt 0x6
	v_dual_mul_f32 v40, v15, v160 :: v_dual_mul_f32 v41, v4, v154
	v_mul_f32_e32 v42, v3, v154
	s_delay_alu instid0(VALU_DEP_3)
	v_fmac_f32_e32 v39, v15, v159
	s_wait_alu 0xfffd
	v_add_co_ci_u32_e32 v2, vcc_lo, s3, v14, vcc_lo
	v_add_co_u32 v17, vcc_lo, v1, s2
	global_load_b64 v[13:14], v[13:14], off
	s_wait_alu 0xfffd
	v_add_co_ci_u32_e32 v18, vcc_lo, s3, v2, vcc_lo
	v_add_co_u32 v19, vcc_lo, v17, s2
	global_load_b64 v[23:24], v[1:2], off
	s_wait_alu 0xfffd
	v_add_co_ci_u32_e32 v20, vcc_lo, s3, v18, vcc_lo
	v_add_co_u32 v21, vcc_lo, v19, s2
	s_clause 0x2
	global_load_b64 v[133:134], v90, s[8:9] offset:6864
	global_load_b64 v[135:136], v90, s[8:9] offset:8448
	;; [unrolled: 1-line block ×3, first 2 shown]
	s_wait_alu 0xfffd
	v_add_co_ci_u32_e32 v22, vcc_lo, s3, v20, vcc_lo
	v_add_co_u32 v1, vcc_lo, v21, s2
	v_fmac_f32_e32 v41, v3, v153
	s_wait_alu 0xfffd
	s_delay_alu instid0(VALU_DEP_3)
	v_add_co_ci_u32_e32 v2, vcc_lo, s3, v22, vcc_lo
	global_load_b64 v[126:127], v90, s[8:9] offset:2640
	global_load_b64 v[17:18], v[17:18], off
	s_clause 0x2
	global_load_b64 v[149:150], v90, s[8:9] offset:5280
	global_load_b64 v[124:125], v90, s[8:9] offset:5808
	;; [unrolled: 1-line block ×3, first 2 shown]
	global_load_b64 v[19:20], v[19:20], off
	global_load_b64 v[21:22], v[21:22], off
	s_wait_loadcnt 0xe
	v_mul_f32_e32 v15, v8, v152
	v_mul_f32_e32 v3, v6, v158
	v_mad_co_u64_u32 v[25:26], null, 0xffffe320, s12, v[1:2]
	global_load_b64 v[27:28], v[1:2], off
	v_fma_f32 v40, v16, v159, -v40
	v_fmac_f32_e32 v15, v7, v151
	v_fma_f32 v42, v4, v153, -v42
	v_mul_f32_e32 v4, v5, v158
	v_dual_fmac_f32 v3, v5, v157 :: v_dual_add_nc_u32 v26, s4, v26
	v_add_co_u32 v1, vcc_lo, v25, s2
	s_wait_loadcnt 0xe
	v_mul_f32_e32 v5, v10, v156
	v_mul_f32_e32 v16, v7, v152
	s_wait_alu 0xfffd
	v_add_co_ci_u32_e32 v2, vcc_lo, s3, v26, vcc_lo
	v_add_co_u32 v29, vcc_lo, v1, s2
	v_fmac_f32_e32 v5, v9, v155
	s_wait_alu 0xfffd
	s_delay_alu instid0(VALU_DEP_3)
	v_add_co_ci_u32_e32 v30, vcc_lo, s3, v2, vcc_lo
	global_load_b64 v[31:32], v[1:2], off
	v_add_co_u32 v1, vcc_lo, v29, s2
	global_load_b64 v[25:26], v[25:26], off
	s_wait_alu 0xfffd
	v_add_co_ci_u32_e32 v2, vcc_lo, s3, v30, vcc_lo
	v_add_co_u32 v33, vcc_lo, v1, s2
	global_load_b64 v[29:30], v[29:30], off
	s_wait_alu 0xfffd
	v_add_co_ci_u32_e32 v34, vcc_lo, s3, v2, vcc_lo
	global_load_b64 v[35:36], v[1:2], off
	v_add_co_u32 v1, vcc_lo, v33, s2
	s_wait_alu 0xfffd
	v_add_co_ci_u32_e32 v2, vcc_lo, s3, v34, vcc_lo
	global_load_b64 v[131:132], v90, s[8:9] offset:7392
	global_load_b64 v[33:34], v[33:34], off
	global_load_b64 v[137:138], v90, s[8:9] offset:8976
	global_load_b64 v[37:38], v[1:2], off
	v_mul_hi_u32 v1, 0xaaaaaaab, v130
	v_fma_f32 v4, v6, v157, -v4
	s_wait_loadcnt 0x15
	v_mul_f32_e32 v7, v12, v144
	v_mul_f32_e32 v6, v9, v156
	v_fma_f32 v16, v8, v151, -v16
	s_load_b128 s[4:7], s[6:7], 0x0
	v_add_co_u32 v88, s2, s8, v90
	v_fmac_f32_e32 v7, v11, v143
	v_lshrrev_b32_e32 v1, 1, v1
	s_wait_alu 0xf1ff
	v_add_co_ci_u32_e64 v89, null, s9, 0, s2
	v_cmp_gt_u16_e32 vcc_lo, 42, v0
	v_fma_f32 v6, v10, v155, -v6
	v_lshl_add_u32 v1, v1, 1, v1
	s_delay_alu instid0(VALU_DEP_1) | instskip(NEXT) | instid1(VALU_DEP_1)
	v_sub_nc_u32_e32 v1, v130, v1
	v_mul_u32_u24_e32 v91, 0x4a4, v1
	s_delay_alu instid0(VALU_DEP_1) | instskip(NEXT) | instid1(VALU_DEP_1)
	v_lshlrev_b32_e32 v181, 3, v91
	v_add_nc_u32_e32 v180, v90, v181
	ds_store_b64 v180, v[41:42] offset:1584
	ds_store_b64 v180, v[3:4] offset:3168
	;; [unrolled: 1-line block ×4, first 2 shown]
	v_add_nc_u32_e32 v1, 0x800, v180
	v_add_nc_u32_e32 v2, 0xc00, v180
	;; [unrolled: 1-line block ×6, first 2 shown]
	s_wait_loadcnt 0x14
	v_mul_f32_e32 v9, v14, v148
	s_wait_loadcnt 0x13
	v_dual_mul_f32 v45, v13, v148 :: v_dual_mul_f32 v4, v23, v146
	s_wait_loadcnt 0xa
	v_dual_mul_f32 v3, v18, v129 :: v_dual_mul_f32 v6, v19, v150
	v_dual_mul_f32 v8, v11, v144 :: v_dual_fmac_f32 v9, v13, v147
	v_mul_f32_e32 v11, v24, v146
	v_mul_f32_e32 v5, v20, v150
	s_delay_alu instid0(VALU_DEP_4) | instskip(NEXT) | instid1(VALU_DEP_4)
	v_fma_f32 v6, v20, v149, -v6
	v_fma_f32 v8, v12, v143, -v8
	;; [unrolled: 1-line block ×3, first 2 shown]
	s_wait_loadcnt 0x8
	v_dual_mul_f32 v4, v17, v129 :: v_dual_mul_f32 v13, v28, v136
	s_delay_alu instid0(VALU_DEP_1) | instskip(NEXT) | instid1(VALU_DEP_2)
	v_fma_f32 v4, v18, v128, -v4
	v_fmac_f32_e32 v13, v27, v135
	s_wait_loadcnt 0x7
	v_mul_f32_e32 v16, v31, v127
	v_fma_f32 v10, v14, v147, -v45
	ds_store_b64 v180, v[7:8] offset:7920
	ds_store_2addr_b64 v180, v[39:40], v[9:10] offset1:66
	s_wait_loadcnt 0x6
	v_mul_f32_e32 v9, v26, v142
	v_mul_f32_e32 v10, v25, v142
	;; [unrolled: 1-line block ×4, first 2 shown]
	s_delay_alu instid0(VALU_DEP_4) | instskip(NEXT) | instid1(VALU_DEP_4)
	v_dual_mul_f32 v14, v27, v136 :: v_dual_fmac_f32 v9, v25, v141
	v_fma_f32 v10, v26, v141, -v10
	v_fmac_f32_e32 v11, v23, v145
	v_mul_f32_e32 v15, v32, v127
	s_wait_loadcnt 0x4
	v_dual_fmac_f32 v3, v17, v128 :: v_dual_mul_f32 v18, v35, v125
	ds_store_b64 v180, v[9:10] offset:1056
	v_mul_f32_e32 v9, v30, v140
	v_dual_mul_f32 v10, v29, v140 :: v_dual_mul_f32 v17, v36, v125
	v_fmac_f32_e32 v5, v19, v149
	s_wait_loadcnt 0x2
	v_mul_f32_e32 v19, v34, v132
	v_mul_f32_e32 v20, v33, v132
	v_fmac_f32_e32 v7, v21, v133
	v_fma_f32 v8, v22, v133, -v8
	s_wait_loadcnt 0x0
	v_mul_f32_e32 v21, v38, v138
	v_mul_f32_e32 v22, v37, v138
	v_fmac_f32_e32 v15, v31, v126
	v_fma_f32 v16, v32, v126, -v16
	v_fmac_f32_e32 v9, v29, v139
	v_fma_f32 v10, v30, v139, -v10
	;; [unrolled: 2-line block ×4, first 2 shown]
	v_fma_f32 v14, v28, v135, -v14
	v_fmac_f32_e32 v21, v37, v137
	v_fma_f32 v22, v38, v137, -v22
	ds_store_2addr_b64 v1, v[11:12], v[15:16] offset0:8 offset1:74
	ds_store_2addr_b64 v2, v[3:4], v[9:10] offset0:78 offset1:144
	;; [unrolled: 1-line block ×5, first 2 shown]
	global_wb scope:SCOPE_SE
	s_wait_dscnt 0x0
	s_wait_kmcnt 0x0
	s_barrier_signal -1
	s_barrier_wait -1
	global_inv scope:SCOPE_SE
	ds_load_2addr_b64 v[3:6], v180 offset1:66
	ds_load_2addr_b64 v[7:10], v1 offset0:140 offset1:206
	ds_load_2addr_b64 v[11:14], v55 offset0:24 offset1:90
	;; [unrolled: 1-line block ×5, first 2 shown]
	v_and_b32_e32 v27, 0xffff, v43
	v_mul_u32_u24_e32 v28, 6, v85
	v_mul_u32_u24_e32 v29, 6, v84
	s_delay_alu instid0(VALU_DEP_2) | instskip(NEXT) | instid1(VALU_DEP_2)
	v_lshl_add_u32 v105, v28, 3, v181
	v_lshl_add_u32 v104, v29, 3, v181
	s_wait_dscnt 0x4
	v_add_f32_e32 v42, v4, v8
	s_wait_dscnt 0x1
	v_add_f32_e32 v61, v16, v20
	s_wait_dscnt 0x0
	v_sub_f32_e32 v60, v20, v24
	v_add_f32_e32 v20, v20, v24
	v_lshl_add_u32 v106, v27, 3, v181
	ds_load_2addr_b64 v[27:30], v1 offset0:8 offset1:74
	ds_load_2addr_b64 v[31:34], v54 offset0:148 offset1:214
	;; [unrolled: 1-line block ×3, first 2 shown]
	v_add_f32_e32 v39, v3, v7
	v_dual_add_f32 v40, v7, v11 :: v_dual_sub_f32 v41, v8, v12
	v_add_f32_e32 v8, v8, v12
	v_add_f32_e32 v44, v21, v25
	v_dual_add_f32 v46, v18, v22 :: v_dual_sub_f32 v7, v7, v11
	v_add_f32_e32 v12, v42, v12
	v_add_f32_e32 v48, v9, v13
	v_dual_add_f32 v50, v6, v10 :: v_dual_add_f32 v43, v17, v21
	v_add_f32_e32 v58, v15, v19
	v_fma_f32 v3, -0.5, v40, v3
	v_fma_f32 v4, -0.5, v8, v4
	s_delay_alu instid0(VALU_DEP_4)
	v_add_f32_e32 v40, v50, v14
	v_fmac_f32_e32 v16, -0.5, v20
	global_wb scope:SCOPE_SE
	s_wait_dscnt 0x0
	s_barrier_signal -1
	v_add_f32_e32 v51, v27, v31
	v_add_f32_e32 v47, v5, v9
	v_sub_f32_e32 v9, v9, v13
	v_dual_add_f32 v62, v29, v33 :: v_dual_sub_f32 v53, v32, v36
	v_dual_sub_f32 v64, v34, v38 :: v_dual_add_f32 v11, v39, v11
	v_fma_f32 v39, -0.5, v44, v17
	v_add_f32_e32 v17, v46, v26
	v_add_f32_e32 v65, v30, v34
	v_dual_add_f32 v34, v34, v38 :: v_dual_add_f32 v57, v28, v32
	v_add_f32_e32 v32, v32, v36
	v_add_f32_e32 v52, v31, v35
	v_sub_f32_e32 v31, v31, v35
	v_add_f32_e32 v63, v33, v37
	v_add_f32_e32 v20, v62, v37
	v_fma_f32 v28, -0.5, v32, v28
	v_fmac_f32_e32 v30, -0.5, v34
	v_fmamk_f32 v34, v41, 0x3f5db3d7, v3
	v_sub_f32_e32 v33, v33, v37
	v_dual_add_f32 v8, v12, v17 :: v_dual_add_f32 v37, v65, v38
	v_dual_fmamk_f32 v38, v7, 0xbf5db3d7, v4 :: v_dual_sub_f32 v49, v10, v14
	v_dual_add_f32 v10, v10, v14 :: v_dual_sub_f32 v21, v21, v25
	v_fma_f32 v5, -0.5, v48, v5
	v_fma_f32 v27, -0.5, v52, v27
	v_add_f32_e32 v32, v58, v23
	s_delay_alu instid0(VALU_DEP_4) | instskip(SKIP_3) | instid1(VALU_DEP_4)
	v_fmac_f32_e32 v6, -0.5, v10
	v_dual_add_f32 v10, v51, v35 :: v_dual_sub_f32 v45, v22, v26
	v_add_f32_e32 v22, v22, v26
	v_add_f32_e32 v26, v47, v13
	v_dual_add_f32 v25, v43, v25 :: v_dual_fmamk_f32 v44, v9, 0xbf5db3d7, v6
	v_fmac_f32_e32 v4, 0x3f5db3d7, v7
	s_delay_alu instid0(VALU_DEP_4)
	v_fma_f32 v22, -0.5, v22, v18
	v_add_f32_e32 v59, v19, v23
	v_sub_f32_e32 v19, v19, v23
	v_fma_f32 v29, -0.5, v63, v29
	v_fmac_f32_e32 v6, 0x3f5db3d7, v9
	v_fmamk_f32 v42, v21, 0xbf5db3d7, v22
	v_dual_fmac_f32 v22, 0x3f5db3d7, v21 :: v_dual_add_f32 v35, v57, v36
	v_dual_add_f32 v36, v61, v24 :: v_dual_fmac_f32 v3, 0xbf5db3d7, v41
	v_sub_f32_e32 v14, v12, v17
	v_add_f32_e32 v7, v11, v25
	v_dual_sub_f32 v13, v11, v25 :: v_dual_add_f32 v50, v32, v20
	v_dual_fmamk_f32 v43, v49, 0x3f5db3d7, v5 :: v_dual_sub_f32 v48, v32, v20
	v_dual_fmamk_f32 v9, v53, 0x3f5db3d7, v27 :: v_dual_mul_f32 v32, -0.5, v22
	v_fmamk_f32 v11, v31, 0xbf5db3d7, v28
	v_dual_fmac_f32 v28, 0x3f5db3d7, v31 :: v_dual_fmamk_f32 v41, v45, 0x3f5db3d7, v39
	v_dual_fmac_f32 v39, 0xbf5db3d7, v45 :: v_dual_fmamk_f32 v12, v33, 0xbf5db3d7, v30
	v_fma_f32 v15, -0.5, v59, v15
	v_fmac_f32_e32 v5, 0xbf5db3d7, v49
	s_delay_alu instid0(VALU_DEP_3) | instskip(SKIP_4) | instid1(VALU_DEP_3)
	v_dual_sub_f32 v23, v26, v10 :: v_dual_fmac_f32 v32, 0xbf5db3d7, v39
	v_fmac_f32_e32 v30, 0x3f5db3d7, v33
	v_dual_mul_f32 v20, -0.5, v39 :: v_dual_mul_f32 v21, 0xbf5db3d7, v41
	v_fmac_f32_e32 v27, 0xbf5db3d7, v53
	v_fmamk_f32 v31, v60, 0x3f5db3d7, v15
	v_dual_mul_f32 v45, -0.5, v28 :: v_dual_fmac_f32 v20, 0x3f5db3d7, v22
	s_delay_alu instid0(VALU_DEP_4) | instskip(SKIP_2) | instid1(VALU_DEP_3)
	v_fmac_f32_e32 v21, 0.5, v42
	v_dual_add_f32 v17, v26, v10 :: v_dual_fmamk_f32 v10, v64, 0x3f5db3d7, v29
	v_dual_fmac_f32 v29, 0xbf5db3d7, v64 :: v_dual_add_f32 v18, v40, v35
	v_dual_sub_f32 v26, v38, v21 :: v_dual_fmac_f32 v15, 0xbf5db3d7, v60
	v_dual_mul_f32 v60, -0.5, v30 :: v_dual_fmac_f32 v45, 0xbf5db3d7, v27
	v_mul_f32_e32 v57, 0x3f5db3d7, v12
	v_add_f32_e32 v51, v36, v37
	v_mul_f32_e32 v58, -0.5, v29
	v_dual_sub_f32 v49, v36, v37 :: v_dual_mul_f32 v36, -0.5, v27
	s_delay_alu instid0(VALU_DEP_4) | instskip(NEXT) | instid1(VALU_DEP_3)
	v_dual_add_f32 v22, v6, v45 :: v_dual_fmac_f32 v57, 0.5, v10
	v_fmac_f32_e32 v58, 0x3f5db3d7, v30
	v_sub_f32_e32 v24, v40, v35
	s_delay_alu instid0(VALU_DEP_4)
	v_fmac_f32_e32 v36, 0x3f5db3d7, v28
	v_mul_f32_e32 v37, 0xbf5db3d7, v9
	v_dual_mul_f32 v59, 0xbf5db3d7, v10 :: v_dual_add_f32 v52, v31, v57
	v_sub_f32_e32 v70, v31, v57
	v_dual_fmamk_f32 v35, v19, 0xbf5db3d7, v16 :: v_dual_add_f32 v10, v38, v21
	v_dual_fmac_f32 v16, 0x3f5db3d7, v19 :: v_dual_mul_f32 v19, 0x3f5db3d7, v42
	v_dual_sub_f32 v40, v5, v36 :: v_dual_fmac_f32 v37, 0.5, v11
	v_mul_f32_e32 v33, 0x3f5db3d7, v11
	v_dual_fmac_f32 v59, 0.5, v12 :: v_dual_fmac_f32 v60, 0xbf5db3d7, v29
	s_delay_alu instid0(VALU_DEP_4)
	v_dual_add_f32 v12, v4, v32 :: v_dual_fmac_f32 v19, 0.5, v41
	v_add_f32_e32 v46, v15, v58
	v_add_f32_e32 v11, v3, v20
	v_dual_sub_f32 v27, v3, v20 :: v_dual_add_f32 v20, v44, v37
	v_dual_fmac_f32 v33, 0.5, v9 :: v_dual_sub_f32 v72, v15, v58
	v_add_f32_e32 v9, v34, v19
	v_dual_sub_f32 v25, v34, v19 :: v_dual_sub_f32 v28, v4, v32
	s_delay_alu instid0(VALU_DEP_3)
	v_add_f32_e32 v19, v43, v33
	v_add_f32_e32 v21, v5, v36
	s_barrier_wait -1
	global_inv scope:SCOPE_SE
	v_sub_f32_e32 v38, v43, v33
	v_sub_f32_e32 v39, v44, v37
	;; [unrolled: 1-line block ×3, first 2 shown]
	v_add_f32_e32 v53, v35, v59
	v_add_f32_e32 v47, v16, v60
	v_sub_f32_e32 v71, v35, v59
	v_sub_f32_e32 v73, v16, v60
	ds_store_b128 v106, v[7:10]
	ds_store_b128 v106, v[11:14] offset:16
	ds_store_b128 v106, v[25:28] offset:32
	ds_store_b128 v105, v[17:20]
	ds_store_b128 v105, v[21:24] offset:16
	ds_store_b128 v105, v[38:41] offset:32
	;; [unrolled: 3-line block ×3, first 2 shown]
	global_wb scope:SCOPE_SE
	s_wait_dscnt 0x0
	s_barrier_signal -1
	s_barrier_wait -1
	global_inv scope:SCOPE_SE
	ds_load_2addr_b64 v[42:45], v180 offset1:108
	ds_load_2addr_b64 v[66:69], v56 offset0:88 offset1:196
	ds_load_2addr_b64 v[62:65], v2 offset0:48 offset1:156
	;; [unrolled: 1-line block ×4, first 2 shown]
	ds_load_b64 v[80:81], v180 offset:8640
	s_and_saveexec_b32 s2, vcc_lo
	s_cbranch_execz .LBB0_3
; %bb.2:
	ds_load_2addr_b64 v[2:5], v2 offset0:114 offset1:222
	ds_load_2addr_b64 v[6:9], v1 offset0:26 offset1:134
	s_wait_dscnt 0x1
	v_dual_mov_b32 v71, v5 :: v_dual_add_nc_u32 v0, 0x1400, v180
	ds_load_2addr_b64 v[10:13], v180 offset0:66 offset1:174
	ds_load_2addr_b64 v[72:75], v0 offset0:74 offset1:182
	v_dual_mov_b32 v49, v3 :: v_dual_add_nc_u32 v0, 0x1c00, v180
	ds_load_b64 v[82:83], v180 offset:9168
	ds_load_2addr_b64 v[76:79], v0 offset0:34 offset1:142
	s_wait_dscnt 0x4
	v_dual_mov_b32 v70, v4 :: v_dual_mov_b32 v47, v9
	v_dual_mov_b32 v48, v2 :: v_dual_mov_b32 v53, v7
	v_mov_b32_e32 v46, v8
	s_wait_dscnt 0x3
	v_dual_mov_b32 v52, v6 :: v_dual_mov_b32 v41, v11
	v_dual_mov_b32 v50, v12 :: v_dual_mov_b32 v51, v13
	v_mov_b32_e32 v40, v10
.LBB0_3:
	s_wait_alu 0xfffe
	s_or_b32 exec_lo, exec_lo, s2
	v_and_b32_e32 v0, 0xff, v179
	s_delay_alu instid0(VALU_DEP_1) | instskip(NEXT) | instid1(VALU_DEP_1)
	v_mul_lo_u16 v0, 0xab, v0
	v_lshrrev_b16 v100, 10, v0
	s_delay_alu instid0(VALU_DEP_1) | instskip(NEXT) | instid1(VALU_DEP_1)
	v_mul_lo_u16 v0, v100, 6
	v_sub_nc_u16 v0, v179, v0
	s_delay_alu instid0(VALU_DEP_1) | instskip(NEXT) | instid1(VALU_DEP_1)
	v_and_b32_e32 v102, 0xff, v0
	v_mul_u32_u24_e32 v0, 10, v102
	s_delay_alu instid0(VALU_DEP_1)
	v_lshlrev_b32_e32 v0, 3, v0
	s_clause 0x1
	global_load_b128 v[36:39], v0, s[10:11]
	global_load_b128 v[32:35], v0, s[10:11] offset:16
	s_wait_loadcnt_dscnt 0x104
	v_dual_mul_f32 v114, v67, v39 :: v_dual_and_b32 v1, 0xff, v85
	s_wait_loadcnt 0x0
	v_mul_f32_e32 v119, v68, v33
	s_clause 0x1
	global_load_b128 v[28:31], v0, s[10:11] offset:32
	global_load_b128 v[24:27], v0, s[10:11] offset:48
	v_mul_lo_u16 v1, 0xab, v1
	v_mul_f32_e32 v112, v45, v37
	v_dual_mul_f32 v117, v44, v37 :: v_dual_mul_f32 v118, v66, v39
	v_mul_f32_e32 v115, v69, v33
	s_delay_alu instid0(VALU_DEP_4)
	v_lshrrev_b16 v101, 10, v1
	s_wait_dscnt 0x3
	v_mul_f32_e32 v116, v63, v35
	v_fma_f32 v66, v66, v38, -v114
	v_mul_f32_e32 v113, v62, v35
	v_fma_f32 v174, v68, v32, -v115
	v_mul_lo_u16 v1, v101, 6
	v_and_b32_e32 v101, 0xffff, v101
	v_fmac_f32_e32 v119, v69, v32
	v_fmac_f32_e32 v113, v63, v34
	;; [unrolled: 1-line block ×3, first 2 shown]
	v_sub_nc_u16 v1, v85, v1
	s_delay_alu instid0(VALU_DEP_1) | instskip(NEXT) | instid1(VALU_DEP_1)
	v_and_b32_e32 v182, 0xff, v1
	v_mul_u32_u24_e32 v1, 10, v182
	s_wait_loadcnt_dscnt 0x102
	s_delay_alu instid0(VALU_DEP_1)
	v_dual_mul_f32 v121, v59, v31 :: v_dual_lshlrev_b32 v16, 3, v1
	s_clause 0x5
	global_load_b128 v[20:23], v0, s[10:11] offset:64
	global_load_b128 v[12:15], v16, s[10:11]
	global_load_b128 v[8:11], v16, s[10:11] offset:16
	global_load_b128 v[0:3], v16, s[10:11] offset:32
	;; [unrolled: 1-line block ×4, first 2 shown]
	s_wait_loadcnt_dscnt 0x601
	v_dual_mul_f32 v120, v65, v29 :: v_dual_mul_f32 v123, v55, v27
	v_dual_mul_f32 v111, v64, v29 :: v_dual_mul_f32 v110, v58, v31
	v_mul_f32_e32 v122, v61, v25
	v_dual_mul_f32 v109, v60, v25 :: v_dual_mul_f32 v108, v54, v27
	v_fma_f32 v173, v44, v36, -v112
	v_fmac_f32_e32 v118, v67, v38
	v_fma_f32 v67, v54, v26, -v123
	v_fma_f32 v116, v62, v34, -v116
	v_fma_f32 v114, v58, v30, -v121
	v_fma_f32 v112, v60, v24, -v122
	global_wb scope:SCOPE_SE
	s_wait_loadcnt_dscnt 0x0
	s_barrier_signal -1
	s_barrier_wait -1
	global_inv scope:SCOPE_SE
	v_dual_mul_f32 v162, v81, v23 :: v_dual_mul_f32 v163, v51, v13
	v_mul_f32_e32 v103, v80, v23
	v_mul_f32_e32 v161, v57, v21
	v_mul_f32_e32 v107, v56, v21
	v_dual_mul_f32 v99, v50, v13 :: v_dual_mul_f32 v164, v53, v15
	v_dual_mul_f32 v97, v46, v9 :: v_dual_mul_f32 v166, v49, v11
	;; [unrolled: 1-line block ×4, first 2 shown]
	v_mul_f32_e32 v86, v82, v19
	v_fma_f32 v54, v80, v22, -v162
	v_dual_fmac_f32 v103, v81, v22 :: v_dual_mul_f32 v98, v52, v15
	v_mul_f32_e32 v165, v47, v9
	v_dual_mul_f32 v95, v70, v1 :: v_dual_mul_f32 v168, v73, v3
	v_dual_mul_f32 v94, v72, v3 :: v_dual_mul_f32 v169, v75, v5
	;; [unrolled: 1-line block ×3, first 2 shown]
	v_fma_f32 v115, v64, v28, -v120
	v_dual_fmac_f32 v111, v65, v28 :: v_dual_fmac_f32 v110, v59, v30
	v_dual_fmac_f32 v109, v61, v24 :: v_dual_fmac_f32 v108, v55, v26
	v_fma_f32 v55, v56, v20, -v161
	v_dual_fmac_f32 v107, v57, v20 :: v_dual_fmac_f32 v86, v83, v18
	v_fma_f32 v59, v50, v12, -v163
	v_dual_fmac_f32 v99, v51, v12 :: v_dual_fmac_f32 v98, v53, v14
	v_dual_fmac_f32 v97, v47, v8 :: v_dual_fmac_f32 v96, v49, v10
	v_fma_f32 v56, v48, v10, -v166
	v_fma_f32 v44, v82, v18, -v172
	v_add_f32_e32 v48, v42, v173
	v_dual_add_f32 v49, v43, v117 :: v_dual_sub_f32 v62, v173, v54
	v_sub_f32_e32 v63, v117, v103
	v_dual_mul_f32 v93, v74, v5 :: v_dual_mul_f32 v170, v77, v7
	v_dual_fmac_f32 v95, v71, v0 :: v_dual_fmac_f32 v94, v73, v2
	v_fma_f32 v45, v78, v16, -v171
	v_dual_fmac_f32 v87, v79, v16 :: v_dual_add_f32 v50, v173, v54
	v_add_f32_e32 v51, v117, v103
	v_dual_add_f32 v73, v118, v107 :: v_dual_add_f32 v80, v115, v114
	v_dual_sub_f32 v64, v66, v55 :: v_dual_sub_f32 v71, v119, v108
	v_dual_sub_f32 v65, v118, v107 :: v_dual_sub_f32 v82, v115, v114
	v_dual_sub_f32 v69, v174, v67 :: v_dual_add_f32 v60, v59, v44
	v_dual_sub_f32 v78, v116, v112 :: v_dual_sub_f32 v83, v111, v110
	v_mul_f32_e32 v122, 0xbf7d64f0, v63
	v_dual_sub_f32 v68, v99, v86 :: v_dual_mul_f32 v117, 0xbf0a6770, v63
	v_dual_add_f32 v48, v48, v66 :: v_dual_mul_f32 v161, 0xbf4178ce, v63
	v_add_f32_e32 v49, v49, v118
	v_dual_mul_f32 v118, 0xbf0a6770, v62 :: v_dual_mul_f32 v187, 0xbf0a6770, v69
	v_mul_f32_e32 v162, 0xbf4178ce, v62
	v_fma_f32 v58, v52, v14, -v164
	v_fma_f32 v57, v46, v8, -v165
	;; [unrolled: 1-line block ×3, first 2 shown]
	v_mul_f32_e32 v167, 0xbf4178ce, v65
	v_fma_f32 v52, v72, v2, -v168
	v_fma_f32 v47, v74, v4, -v169
	;; [unrolled: 1-line block ×3, first 2 shown]
	v_add_f32_e32 v74, v174, v67
	v_dual_add_f32 v76, v116, v112 :: v_dual_sub_f32 v79, v113, v109
	v_sub_f32_e32 v70, v59, v44
	v_dual_add_f32 v81, v111, v110 :: v_dual_mul_f32 v120, 0xbf68dda4, v63
	v_dual_add_f32 v61, v99, v86 :: v_dual_mul_f32 v166, 0xbf68dda4, v64
	v_mul_f32_e32 v121, 0xbf68dda4, v62
	v_dual_mul_f32 v123, 0xbf7d64f0, v62 :: v_dual_mul_f32 v176, 0xbf7d64f0, v71
	v_dual_mul_f32 v163, 0xbe903f40, v63 :: v_dual_mul_f32 v164, 0xbe903f40, v62
	v_dual_mul_f32 v165, 0xbf68dda4, v65 :: v_dual_add_f32 v48, v48, v174
	v_mul_f32_e32 v168, 0xbf4178ce, v64
	v_dual_mul_f32 v171, 0x3f7d64f0, v65 :: v_dual_mul_f32 v172, 0x3f7d64f0, v64
	v_dual_mul_f32 v62, 0xbf0a6770, v68 :: v_dual_add_f32 v49, v49, v119
	v_fmamk_f32 v174, v51, 0x3f575c64, v118
	v_fma_f32 v208, 0xbe11bafb, v50, -v122
	v_fmamk_f32 v211, v51, 0xbf27a4f4, v162
	v_fma_f32 v162, 0xbf27a4f4, v51, -v162
	v_dual_fmac_f32 v93, v75, v4 :: v_dual_fmac_f32 v92, v77, v6
	v_dual_add_f32 v72, v66, v55 :: v_dual_add_f32 v75, v119, v108
	v_add_f32_e32 v77, v113, v109
	v_dual_mul_f32 v169, 0x3e903f40, v65 :: v_dual_mul_f32 v170, 0x3e903f40, v64
	v_dual_mul_f32 v173, 0x3f0a6770, v65 :: v_dual_mul_f32 v200, 0x3f0a6770, v83
	v_mul_f32_e32 v177, 0xbf7d64f0, v69
	v_dual_mul_f32 v178, 0x3e903f40, v71 :: v_dual_mul_f32 v183, 0x3e903f40, v69
	v_dual_mul_f32 v184, 0x3f68dda4, v71 :: v_dual_mul_f32 v185, 0x3f68dda4, v69
	;; [unrolled: 1-line block ×8, first 2 shown]
	v_dual_mul_f32 v201, 0x3f0a6770, v82 :: v_dual_add_f32 v48, v48, v116
	v_fma_f32 v119, 0x3f575c64, v50, -v117
	v_fmac_f32_e32 v117, 0x3f575c64, v50
	v_dual_mul_f32 v175, 0x3f0a6770, v64 :: v_dual_add_f32 v116, v43, v174
	v_mul_f32_e32 v64, 0xbf68dda4, v68
	v_fma_f32 v118, 0x3f575c64, v51, -v118
	v_fma_f32 v206, 0x3ed4b147, v50, -v120
	v_dual_fmamk_f32 v207, v51, 0x3ed4b147, v121 :: v_dual_fmac_f32 v120, 0x3ed4b147, v50
	v_dual_fmamk_f32 v209, v51, 0xbe11bafb, v123 :: v_dual_fmac_f32 v122, 0xbe11bafb, v50
	v_fma_f32 v210, 0xbf27a4f4, v50, -v161
	v_fmac_f32_e32 v161, 0xbf27a4f4, v50
	v_fma_f32 v212, 0xbf75a155, v50, -v163
	v_fmamk_f32 v213, v51, 0xbf75a155, v164
	v_fmac_f32_e32 v163, 0xbf75a155, v50
	v_fma_f32 v50, 0xbf75a155, v51, -v164
	v_fmamk_f32 v164, v73, 0x3ed4b147, v166
	v_dual_fmamk_f32 v219, v73, 0xbe11bafb, v172 :: v_dual_add_f32 v162, v43, v162
	v_fma_f32 v172, 0xbe11bafb, v73, -v172
	v_dual_add_f32 v49, v49, v113 :: v_dual_mul_f32 v194, 0xbf0a6770, v79
	v_mul_f32_e32 v63, 0xbf0a6770, v70
	v_dual_mul_f32 v79, 0x3f68dda4, v79 :: v_dual_mul_f32 v78, 0x3f68dda4, v78
	v_dual_mul_f32 v202, 0xbf4178ce, v83 :: v_dual_mul_f32 v203, 0xbf4178ce, v82
	;; [unrolled: 1-line block ×4, first 2 shown]
	v_mul_f32_e32 v82, 0xbf7d64f0, v82
	v_dual_mul_f32 v69, 0xbf7d64f0, v70 :: v_dual_add_f32 v120, v42, v120
	v_dual_mul_f32 v71, 0xbf4178ce, v68 :: v_dual_add_f32 v118, v43, v118
	v_fma_f32 v121, 0x3ed4b147, v51, -v121
	v_fma_f32 v123, 0xbe11bafb, v51, -v123
	;; [unrolled: 1-line block ×3, first 2 shown]
	v_fmac_f32_e32 v165, 0x3ed4b147, v72
	v_fma_f32 v166, 0x3ed4b147, v73, -v166
	v_fma_f32 v214, 0xbf27a4f4, v72, -v167
	v_dual_fmamk_f32 v215, v73, 0xbf27a4f4, v168 :: v_dual_add_f32 v122, v42, v122
	v_fmac_f32_e32 v167, 0xbf27a4f4, v72
	v_fma_f32 v168, 0xbf27a4f4, v73, -v168
	v_fma_f32 v216, 0xbf75a155, v72, -v169
	v_fmamk_f32 v217, v73, 0xbf75a155, v170
	v_fmac_f32_e32 v169, 0xbf75a155, v72
	v_fma_f32 v170, 0xbf75a155, v73, -v170
	v_fma_f32 v218, 0xbe11bafb, v72, -v171
	v_fmac_f32_e32 v171, 0xbe11bafb, v72
	v_fma_f32 v220, 0x3f575c64, v72, -v173
	v_fmamk_f32 v221, v73, 0x3f575c64, v175
	v_fma_f32 v222, 0xbf75a155, v74, -v178
	v_fmac_f32_e32 v178, 0xbf75a155, v74
	v_fma_f32 v224, 0x3ed4b147, v74, -v184
	v_dual_fmamk_f32 v225, v75, 0x3ed4b147, v185 :: v_dual_fmac_f32 v184, 0x3ed4b147, v74
	v_fma_f32 v226, 0x3f575c64, v74, -v186
	v_fmac_f32_e32 v186, 0x3f575c64, v74
	v_fma_f32 v228, 0xbf27a4f4, v74, -v188
	v_dual_fmamk_f32 v229, v75, 0xbf27a4f4, v189 :: v_dual_fmac_f32 v188, 0xbf27a4f4, v74
	v_fma_f32 v230, 0xbe11bafb, v76, -v192
	v_fmac_f32_e32 v192, 0xbe11bafb, v76
	v_fma_f32 v234, 0xbf75a155, v76, -v196
	v_fmac_f32_e32 v196, 0xbf75a155, v76
	v_fmac_f32_e32 v173, 0x3f575c64, v72
	v_fma_f32 v72, 0x3f575c64, v73, -v175
	v_fma_f32 v73, 0xbe11bafb, v74, -v176
	v_dual_fmamk_f32 v175, v75, 0xbe11bafb, v177 :: v_dual_fmac_f32 v176, 0xbe11bafb, v74
	v_fma_f32 v74, 0xbf27a4f4, v75, -v189
	v_fmamk_f32 v189, v77, 0xbf27a4f4, v191
	v_fma_f32 v191, 0xbf27a4f4, v77, -v191
	v_dual_add_f32 v113, v42, v119 :: v_dual_add_f32 v162, v172, v162
	v_add_f32_e32 v49, v49, v111
	v_add_f32_e32 v111, v164, v116
	;; [unrolled: 1-line block ×3, first 2 shown]
	v_dual_add_f32 v206, v42, v208 :: v_dual_mul_f32 v65, 0xbf68dda4, v70
	v_add_f32_e32 v174, v43, v207
	v_fma_f32 v177, 0xbe11bafb, v75, -v177
	v_fmamk_f32 v223, v75, 0xbf75a155, v183
	v_fma_f32 v183, 0xbf75a155, v75, -v183
	v_fma_f32 v185, 0x3ed4b147, v75, -v185
	v_fmamk_f32 v227, v75, 0x3f575c64, v187
	v_fma_f32 v187, 0x3f575c64, v75, -v187
	v_fma_f32 v75, 0xbf27a4f4, v76, -v190
	v_fmac_f32_e32 v190, 0xbf27a4f4, v76
	v_fma_f32 v232, 0x3f575c64, v76, -v194
	v_fmac_f32_e32 v194, 0x3f575c64, v76
	v_fma_f32 v236, 0x3ed4b147, v76, -v79
	v_dual_fmac_f32 v79, 0x3ed4b147, v76 :: v_dual_fmamk_f32 v246, v60, 0x3ed4b147, v64
	v_fmamk_f32 v237, v77, 0x3ed4b147, v78
	v_fma_f32 v76, 0x3ed4b147, v77, -v78
	v_fmamk_f32 v78, v81, 0xbf75a155, v199
	v_dual_fmamk_f32 v239, v81, 0x3f575c64, v201 :: v_dual_add_f32 v48, v48, v115
	v_fma_f32 v244, 0xbe11bafb, v80, -v83
	v_fmamk_f32 v245, v81, 0xbe11bafb, v82
	v_fmac_f32_e32 v83, 0xbe11bafb, v80
	s_delay_alu instid0(VALU_DEP_4)
	v_dual_add_f32 v207, v43, v209 :: v_dual_add_f32 v48, v48, v114
	v_add_f32_e32 v208, v42, v210
	v_add_f32_e32 v210, v42, v212
	;; [unrolled: 1-line block ×3, first 2 shown]
	v_dual_add_f32 v161, v42, v161 :: v_dual_add_f32 v118, v167, v120
	v_dual_add_f32 v120, v216, v206 :: v_dual_add_f32 v209, v43, v211
	v_add_f32_e32 v211, v43, v213
	v_add_f32_e32 v117, v42, v117
	v_dual_add_f32 v42, v42, v163 :: v_dual_add_f32 v121, v43, v121
	v_dual_add_f32 v123, v43, v123 :: v_dual_add_f32 v114, v178, v118
	v_add_f32_e32 v163, v218, v208
	v_add_f32_e32 v43, v43, v50
	s_delay_alu instid0(VALU_DEP_4) | instskip(SKIP_2) | instid1(VALU_DEP_3)
	v_add_f32_e32 v42, v173, v42
	v_dual_fmamk_f32 v231, v77, 0xbe11bafb, v193 :: v_dual_fmamk_f32 v248, v60, 0xbe11bafb, v66
	v_fma_f32 v193, 0xbe11bafb, v77, -v193
	v_dual_fmamk_f32 v233, v77, 0x3f575c64, v195 :: v_dual_add_f32 v42, v188, v42
	v_add_f32_e32 v43, v72, v43
	v_add_f32_e32 v49, v49, v110
	v_add_f32_e32 v110, v177, v115
	v_fma_f32 v195, 0x3f575c64, v77, -v195
	v_fmamk_f32 v235, v77, 0xbf75a155, v197
	v_fma_f32 v197, 0xbf75a155, v77, -v197
	v_fma_f32 v77, 0xbf75a155, v80, -v198
	v_fmac_f32_e32 v198, 0xbf75a155, v80
	v_fma_f32 v199, 0xbf75a155, v81, -v199
	v_fma_f32 v238, 0x3f575c64, v80, -v200
	v_fmac_f32_e32 v200, 0x3f575c64, v80
	;; [unrolled: 3-line block ×3, first 2 shown]
	v_fma_f32 v242, 0x3ed4b147, v80, -v204
	v_dual_fmamk_f32 v243, v81, 0x3ed4b147, v205 :: v_dual_fmac_f32 v204, 0x3ed4b147, v80
	v_fma_f32 v205, 0x3ed4b147, v81, -v205
	v_fma_f32 v80, 0xbe11bafb, v81, -v82
	v_add_f32_e32 v122, v169, v122
	v_dual_add_f32 v42, v79, v42 :: v_dual_add_f32 v43, v74, v43
	v_add_f32_e32 v74, v191, v110
	v_dual_add_f32 v72, v175, v111 :: v_dual_fmamk_f32 v241, v81, 0xbf27a4f4, v203
	v_add_f32_e32 v116, v214, v119
	v_fma_f32 v203, 0xbf27a4f4, v81, -v203
	v_fmamk_f32 v81, v60, 0x3f575c64, v62
	v_fma_f32 v82, 0x3f575c64, v61, -v63
	v_add_f32_e32 v118, v184, v122
	v_dual_add_f32 v166, v221, v211 :: v_dual_add_f32 v111, v222, v116
	v_add_f32_e32 v116, v224, v120
	v_add_f32_e32 v164, v219, v209
	;; [unrolled: 1-line block ×3, first 2 shown]
	v_dual_add_f32 v113, v165, v117 :: v_dual_add_f32 v48, v48, v112
	v_dual_add_f32 v120, v226, v163 :: v_dual_add_f32 v161, v171, v161
	v_dual_add_f32 v72, v189, v72 :: v_dual_add_f32 v165, v220, v210
	v_dual_add_f32 v50, v40, v81 :: v_dual_add_f32 v117, v215, v174
	v_add_f32_e32 v112, v232, v116
	s_delay_alu instid0(VALU_DEP_4)
	v_dual_add_f32 v119, v168, v121 :: v_dual_add_f32 v116, v234, v120
	v_dual_add_f32 v81, v41, v82 :: v_dual_add_f32 v122, v186, v161
	v_add_f32_e32 v123, v170, v123
	v_dual_add_f32 v184, v78, v72 :: v_dual_add_f32 v161, v228, v165
	v_dual_add_f32 v121, v217, v207 :: v_dual_add_f32 v110, v192, v114
	;; [unrolled: 1-line block ×3, first 2 shown]
	s_delay_alu instid0(VALU_DEP_4) | instskip(NEXT) | instid1(VALU_DEP_4)
	v_dual_add_f32 v118, v196, v122 :: v_dual_add_f32 v119, v185, v123
	v_dual_add_f32 v120, v236, v161 :: v_dual_add_f32 v123, v187, v162
	v_add_f32_e32 v162, v229, v166
	v_dual_add_f32 v51, v73, v51 :: v_dual_add_f32 v186, v199, v74
	v_fma_f32 v247, 0x3ed4b147, v61, -v65
	v_dual_add_f32 v48, v48, v67 :: v_dual_add_f32 v49, v49, v109
	s_delay_alu instid0(VALU_DEP_3)
	v_add_f32_e32 v51, v75, v51
	v_add_f32_e32 v75, v230, v111
	;; [unrolled: 1-line block ×4, first 2 shown]
	v_dual_add_f32 v113, v223, v117 :: v_dual_add_f32 v194, v202, v114
	v_dual_add_f32 v117, v225, v121 :: v_dual_add_f32 v196, v242, v116
	s_delay_alu instid0(VALU_DEP_3) | instskip(SKIP_3) | instid1(VALU_DEP_4)
	v_add_f32_e32 v73, v190, v73
	v_dual_add_f32 v121, v227, v164 :: v_dual_add_f32 v48, v48, v55
	v_add_f32_e32 v202, v83, v42
	v_add_f32_e32 v42, v58, v45
	v_dual_add_f32 v185, v198, v73 :: v_dual_sub_f32 v166, v57, v46
	v_add_f32_e32 v198, v204, v118
	v_sub_f32_e32 v118, v98, v87
	v_dual_add_f32 v115, v195, v119 :: v_dual_add_f32 v204, v48, v54
	v_add_f32_e32 v48, v41, v247
	v_add_f32_e32 v43, v76, v43
	s_delay_alu instid0(VALU_DEP_4) | instskip(NEXT) | instid1(VALU_DEP_4)
	v_mul_f32_e32 v73, 0xbf68dda4, v118
	v_dual_add_f32 v195, v203, v115 :: v_dual_mul_f32 v122, 0x3f68dda4, v166
	v_sub_f32_e32 v175, v53, v52
	s_delay_alu instid0(VALU_DEP_4)
	v_dual_add_f32 v203, v80, v43 :: v_dual_mul_f32 v164, 0xbf0a6770, v166
	v_fmamk_f32 v43, v60, 0xbf27a4f4, v71
	v_add_f32_e32 v109, v231, v113
	v_fmamk_f32 v67, v42, 0x3ed4b147, v73
	v_dual_mul_f32 v80, 0xbf4178ce, v118 :: v_dual_sub_f32 v163, v97, v92
	v_add_f32_e32 v189, v200, v110
	v_dual_add_f32 v200, v244, v120 :: v_dual_add_f32 v119, v197, v123
	s_delay_alu instid0(VALU_DEP_4)
	v_dual_add_f32 v50, v67, v50 :: v_dual_sub_f32 v123, v58, v45
	v_add_f32_e32 v113, v233, v117
	v_fma_f32 v249, 0xbe11bafb, v61, -v69
	v_add_f32_e32 v82, v40, v246
	v_add_f32_e32 v54, v40, v43
	v_mul_f32_e32 v74, 0xbf68dda4, v123
	v_dual_add_f32 v192, v241, v113 :: v_dual_add_f32 v43, v98, v87
	v_fmamk_f32 v72, v42, 0xbf27a4f4, v80
	v_mul_f32_e32 v113, 0x3e903f40, v123
	v_dual_add_f32 v117, v235, v121 :: v_dual_mul_f32 v116, 0x3f7d64f0, v118
	v_dual_add_f32 v49, v49, v108 :: v_dual_mul_f32 v114, 0xbf4178ce, v70
	v_add_f32_e32 v183, v77, v51
	v_dual_add_f32 v51, v41, v249 :: v_dual_sub_f32 v170, v56, v47
	v_fma_f32 v67, 0x3ed4b147, v43, -v74
	v_sub_f32_e32 v173, v95, v94
	v_add_f32_e32 v79, v72, v82
	v_fma_f32 v72, 0xbf75a155, v43, -v113
	s_delay_alu instid0(VALU_DEP_4) | instskip(SKIP_2) | instid1(VALU_DEP_4)
	v_dual_add_f32 v121, v237, v162 :: v_dual_add_f32 v76, v67, v81
	v_add_f32_e32 v190, v201, v111
	v_add_f32_e32 v199, v205, v119
	v_dual_add_f32 v51, v72, v51 :: v_dual_fmamk_f32 v72, v42, 0xbe11bafb, v116
	v_add_f32_e32 v49, v49, v107
	v_mul_f32_e32 v107, 0x3e903f40, v118
	v_dual_add_f32 v201, v245, v121 :: v_dual_mul_f32 v162, 0xbf0a6770, v163
	v_sub_f32_e32 v169, v96, v93
	s_delay_alu instid0(VALU_DEP_4) | instskip(SKIP_4) | instid1(VALU_DEP_3)
	v_add_f32_e32 v205, v49, v103
	v_add_f32_e32 v49, v40, v248
	v_fmamk_f32 v67, v42, 0xbf75a155, v107
	v_dual_add_f32 v191, v240, v112 :: v_dual_mul_f32 v78, 0xbf7d64f0, v166
	v_dual_add_f32 v54, v72, v54 :: v_dual_add_f32 v187, v238, v75
	v_dual_add_f32 v72, v97, v92 :: v_dual_add_f32 v49, v67, v49
	v_mul_f32_e32 v168, 0xbe903f40, v170
	v_dual_add_f32 v67, v57, v46 :: v_dual_add_f32 v188, v239, v109
	v_mul_f32_e32 v109, 0x3e903f40, v166
	v_fma_f32 v55, 0xbf27a4f4, v61, -v114
	v_mul_f32_e32 v77, 0xbf7d64f0, v163
	s_delay_alu instid0(VALU_DEP_4)
	v_fmamk_f32 v112, v67, 0x3f575c64, v162
	v_mul_f32_e32 v111, 0x3f68dda4, v163
	v_fma_f32 v82, 0xbf75a155, v72, -v109
	v_mul_f32_e32 v121, 0xbf0a6770, v169
	v_fma_f32 v115, 0x3f575c64, v72, -v164
	v_dual_add_f32 v54, v112, v54 :: v_dual_mul_f32 v83, 0xbf4178ce, v123
	v_fmamk_f32 v103, v67, 0x3ed4b147, v111
	v_mul_f32_e32 v165, 0xbf0a6770, v170
	v_mul_f32_e32 v167, 0xbe903f40, v169
	;; [unrolled: 1-line block ×3, first 2 shown]
	v_fma_f32 v75, 0xbf27a4f4, v43, -v83
	v_add_f32_e32 v49, v103, v49
	s_delay_alu instid0(VALU_DEP_2) | instskip(SKIP_1) | instid1(VALU_DEP_2)
	v_dual_mul_f32 v103, 0xbf4178ce, v170 :: v_dual_add_f32 v48, v75, v48
	v_add_f32_e32 v197, v243, v117
	v_dual_mul_f32 v117, 0x3f7d64f0, v123 :: v_dual_add_f32 v48, v82, v48
	v_add_f32_e32 v55, v41, v55
	s_delay_alu instid0(VALU_DEP_2) | instskip(NEXT) | instid1(VALU_DEP_1)
	v_fma_f32 v75, 0xbe11bafb, v43, -v117
	v_dual_mul_f32 v82, 0xbf4178ce, v169 :: v_dual_add_f32 v55, v75, v55
	v_fmamk_f32 v75, v67, 0xbe11bafb, v77
	s_delay_alu instid0(VALU_DEP_2) | instskip(NEXT) | instid1(VALU_DEP_2)
	v_add_f32_e32 v55, v115, v55
	v_add_f32_e32 v50, v75, v50
	v_fma_f32 v75, 0xbe11bafb, v72, -v78
	s_delay_alu instid0(VALU_DEP_1) | instskip(SKIP_2) | instid1(VALU_DEP_2)
	v_dual_mul_f32 v115, 0x3f7d64f0, v169 :: v_dual_add_f32 v110, v75, v76
	v_add_f32_e32 v75, v56, v47
	v_add_f32_e32 v76, v96, v93
	v_fmamk_f32 v112, v75, 0x3f575c64, v121
	v_fmamk_f32 v119, v75, 0xbf27a4f4, v82
	s_delay_alu instid0(VALU_DEP_3) | instskip(NEXT) | instid1(VALU_DEP_3)
	v_fma_f32 v120, 0x3f575c64, v76, -v165
	v_dual_add_f32 v49, v112, v49 :: v_dual_mul_f32 v112, 0xbe903f40, v175
	v_mul_f32_e32 v108, 0x3e903f40, v163
	s_delay_alu instid0(VALU_DEP_4) | instskip(SKIP_1) | instid1(VALU_DEP_3)
	v_add_f32_e32 v50, v119, v50
	v_mul_f32_e32 v119, 0x3f7d64f0, v170
	v_fmamk_f32 v81, v67, 0xbf75a155, v108
	s_delay_alu instid0(VALU_DEP_1) | instskip(SKIP_1) | instid1(VALU_DEP_1)
	v_add_f32_e32 v79, v81, v79
	v_fma_f32 v81, 0x3ed4b147, v72, -v122
	v_add_f32_e32 v51, v81, v51
	v_fma_f32 v81, 0xbf27a4f4, v76, -v103
	s_delay_alu instid0(VALU_DEP_1) | instskip(SKIP_4) | instid1(VALU_DEP_4)
	v_dual_add_f32 v176, v120, v51 :: v_dual_add_f32 v171, v81, v110
	v_fmamk_f32 v81, v75, 0xbe11bafb, v115
	v_fma_f32 v110, 0xbe11bafb, v76, -v119
	v_mul_f32_e32 v120, 0x3f0a6770, v173
	v_fma_f32 v51, 0xbf75a155, v76, -v168
	v_dual_add_f32 v172, v81, v79 :: v_dual_fmamk_f32 v79, v75, 0xbf75a155, v167
	s_delay_alu instid0(VALU_DEP_4) | instskip(NEXT) | instid1(VALU_DEP_3)
	v_dual_add_f32 v81, v95, v94 :: v_dual_add_f32 v48, v110, v48
	v_dual_mul_f32 v110, 0xbe903f40, v173 :: v_dual_add_f32 v55, v51, v55
	s_delay_alu instid0(VALU_DEP_3) | instskip(NEXT) | instid1(VALU_DEP_3)
	v_dual_add_f32 v54, v79, v54 :: v_dual_add_f32 v79, v53, v52
	v_fma_f32 v206, 0x3f575c64, v81, -v161
	v_fma_f32 v178, 0xbf75a155, v81, -v112
	s_delay_alu instid0(VALU_DEP_3) | instskip(SKIP_1) | instid1(VALU_DEP_4)
	v_fmamk_f32 v174, v79, 0xbf75a155, v110
	v_fmamk_f32 v193, v79, 0x3f575c64, v120
	v_add_f32_e32 v51, v206, v48
	v_and_b32_e32 v48, 0xffff, v100
	s_delay_alu instid0(VALU_DEP_4)
	v_dual_mul_f32 v100, 0xbf4178ce, v173 :: v_dual_add_f32 v177, v174, v50
	v_add_f32_e32 v178, v178, v171
	v_dual_add_f32 v50, v193, v172 :: v_dual_mul_f32 v171, 0xbf4178ce, v175
	v_mul_f32_e32 v172, 0x3f68dda4, v173
	v_mul_f32_e32 v174, 0x3f68dda4, v175
	v_mul_u32_u24_e32 v48, 0x42, v48
	v_fmamk_f32 v193, v79, 0xbf27a4f4, v100
	v_fma_f32 v206, 0xbf27a4f4, v81, -v171
	v_fmamk_f32 v207, v79, 0x3ed4b147, v172
	v_fma_f32 v208, 0x3ed4b147, v81, -v174
	v_add_nc_u32_e32 v102, v48, v102
	s_delay_alu instid0(VALU_DEP_4) | instskip(NEXT) | instid1(VALU_DEP_3)
	v_dual_add_f32 v48, v193, v49 :: v_dual_add_f32 v49, v206, v176
	v_dual_add_f32 v54, v207, v54 :: v_dual_add_f32 v55, v208, v55
	s_delay_alu instid0(VALU_DEP_3)
	v_lshl_add_u32 v193, v102, 3, v181
	ds_store_2addr_b64 v193, v[204:205], v[183:184] offset1:6
	ds_store_2addr_b64 v193, v[187:188], v[191:192] offset0:12 offset1:18
	scratch_store_b32 off, v101, off        ; 4-byte Folded Spill
	ds_store_2addr_b64 v193, v[196:197], v[200:201] offset0:24 offset1:30
	ds_store_2addr_b64 v193, v[202:203], v[198:199] offset0:36 offset1:42
	;; [unrolled: 1-line block ×3, first 2 shown]
	ds_store_b64 v193, v[185:186] offset:480
	s_and_saveexec_b32 s2, vcc_lo
	s_cbranch_execz .LBB0_5
; %bb.4:
	v_dual_mul_f32 v70, 0xbe903f40, v70 :: v_dual_mul_f32 v221, 0xbe903f40, v68
	v_mul_f32_e32 v118, 0x3f0a6770, v118
	v_dual_mul_f32 v187, 0xbe11bafb, v60 :: v_dual_mul_f32 v188, 0xbe11bafb, v61
	v_dual_mul_f32 v101, 0xbf27a4f4, v60 :: v_dual_mul_f32 v102, 0xbf27a4f4, v61
	s_delay_alu instid0(VALU_DEP_4) | instskip(SKIP_3) | instid1(VALU_DEP_4)
	v_fma_f32 v223, 0xbf75a155, v60, -v221
	v_fmamk_f32 v218, v61, 0xbf75a155, v70
	v_dual_mul_f32 v166, 0xbf4178ce, v166 :: v_dual_mul_f32 v163, 0xbf4178ce, v163
	v_fma_f32 v224, 0x3f575c64, v42, -v118
	v_add_f32_e32 v223, v40, v223
	s_delay_alu instid0(VALU_DEP_4) | instskip(SKIP_2) | instid1(VALU_DEP_3)
	v_dual_mul_f32 v123, 0x3f0a6770, v123 :: v_dual_add_f32 v68, v41, v218
	v_dual_mul_f32 v196, 0xbe11bafb, v42 :: v_dual_mul_f32 v197, 0xbe11bafb, v43
	v_dual_mul_f32 v216, 0x3f575c64, v79 :: v_dual_add_f32 v69, v69, v188
	v_dual_fmamk_f32 v218, v43, 0x3f575c64, v123 :: v_dual_add_f32 v223, v224, v223
	v_dual_mul_f32 v170, 0x3f68dda4, v170 :: v_dual_mul_f32 v169, 0x3f68dda4, v169
	s_delay_alu instid0(VALU_DEP_3) | instskip(NEXT) | instid1(VALU_DEP_3)
	v_dual_add_f32 v114, v114, v102 :: v_dual_add_f32 v69, v41, v69
	v_dual_add_f32 v68, v218, v68 :: v_dual_mul_f32 v175, 0xbf7d64f0, v175
	v_fmamk_f32 v218, v72, 0xbf27a4f4, v166
	v_dual_mul_f32 v202, 0x3ed4b147, v67 :: v_dual_mul_f32 v203, 0x3ed4b147, v72
	v_dual_mul_f32 v210, 0x3f575c64, v75 :: v_dual_add_f32 v117, v117, v197
	s_delay_alu instid0(VALU_DEP_3) | instskip(SKIP_4) | instid1(VALU_DEP_4)
	v_dual_add_f32 v68, v218, v68 :: v_dual_mul_f32 v173, 0xbf7d64f0, v173
	v_fma_f32 v224, 0xbf27a4f4, v67, -v163
	v_add_f32_e32 v114, v41, v114
	v_fmamk_f32 v218, v76, 0x3ed4b147, v170
	v_dual_mul_f32 v194, 0xbf75a155, v42 :: v_dual_mul_f32 v195, 0xbf75a155, v43
	v_add_f32_e32 v223, v224, v223
	v_fma_f32 v224, 0x3ed4b147, v75, -v169
	s_delay_alu instid0(VALU_DEP_4) | instskip(SKIP_3) | instid1(VALU_DEP_3)
	v_add_f32_e32 v68, v218, v68
	v_fmamk_f32 v218, v81, 0xbe11bafb, v175
	v_dual_mul_f32 v184, 0x3f575c64, v61 :: v_dual_mul_f32 v205, 0x3f575c64, v72
	v_dual_mul_f32 v219, 0xbf27a4f4, v79 :: v_dual_mul_f32 v220, 0xbf27a4f4, v81
	v_dual_add_f32 v102, v218, v68 :: v_dual_add_f32 v113, v113, v195
	v_sub_f32_e32 v68, v101, v71
	v_add_f32_e32 v71, v224, v223
	v_fma_f32 v101, 0xbe11bafb, v79, -v173
	v_dual_mul_f32 v204, 0x3f575c64, v67 :: v_dual_mul_f32 v211, 0x3f575c64, v76
	v_dual_mul_f32 v212, 0xbf75a155, v75 :: v_dual_mul_f32 v213, 0xbf75a155, v76
	v_dual_sub_f32 v116, v196, v116 :: v_dual_add_f32 v69, v113, v69
	s_delay_alu instid0(VALU_DEP_4) | instskip(SKIP_4) | instid1(VALU_DEP_4)
	v_add_f32_e32 v101, v101, v71
	v_add_f32_e32 v113, v122, v203
	v_dual_add_f32 v71, v117, v114 :: v_dual_add_f32 v114, v164, v205
	v_add_f32_e32 v117, v165, v211
	v_dual_mul_f32 v222, 0x3ed4b147, v79 :: v_dual_mul_f32 v225, 0x3ed4b147, v81
	v_dual_add_f32 v113, v113, v69 :: v_dual_sub_f32 v66, v187, v66
	s_delay_alu instid0(VALU_DEP_4) | instskip(SKIP_2) | instid1(VALU_DEP_3)
	v_dual_add_f32 v71, v114, v71 :: v_dual_add_f32 v114, v168, v213
	v_dual_mul_f32 v185, 0x3ed4b147, v60 :: v_dual_mul_f32 v186, 0x3ed4b147, v61
	v_dual_mul_f32 v191, 0xbf27a4f4, v42 :: v_dual_mul_f32 v192, 0xbf27a4f4, v43
	v_add_f32_e32 v71, v114, v71
	s_delay_alu instid0(VALU_DEP_3) | instskip(SKIP_2) | instid1(VALU_DEP_3)
	v_dual_add_f32 v114, v174, v225 :: v_dual_add_f32 v65, v65, v186
	v_dual_add_f32 v66, v40, v66 :: v_dual_sub_f32 v107, v194, v107
	v_dual_mul_f32 v208, 0xbe11bafb, v75 :: v_dual_mul_f32 v209, 0xbe11bafb, v76
	v_add_f32_e32 v69, v114, v71
	v_add_f32_e32 v71, v117, v113
	;; [unrolled: 1-line block ×4, first 2 shown]
	v_dual_add_f32 v114, v41, v65 :: v_dual_add_f32 v83, v83, v192
	s_delay_alu instid0(VALU_DEP_3) | instskip(NEXT) | instid1(VALU_DEP_3)
	v_dual_add_f32 v66, v107, v66 :: v_dual_add_f32 v65, v113, v71
	v_add_f32_e32 v68, v116, v68
	v_dual_sub_f32 v116, v204, v162 :: v_dual_sub_f32 v71, v202, v111
	v_sub_f32_e32 v64, v185, v64
	v_dual_mul_f32 v200, 0xbf75a155, v67 :: v_dual_mul_f32 v201, 0xbf75a155, v72
	s_delay_alu instid0(VALU_DEP_3) | instskip(NEXT) | instid1(VALU_DEP_4)
	v_add_f32_e32 v68, v116, v68
	v_dual_add_f32 v66, v71, v66 :: v_dual_sub_f32 v71, v210, v121
	s_delay_alu instid0(VALU_DEP_3) | instskip(SKIP_2) | instid1(VALU_DEP_4)
	v_dual_add_f32 v64, v40, v64 :: v_dual_add_f32 v107, v109, v201
	v_sub_f32_e32 v80, v191, v80
	v_dual_mul_f32 v176, 0x3f575c64, v60 :: v_dual_mul_f32 v217, 0x3f575c64, v81
	v_add_f32_e32 v66, v71, v66
	v_dual_sub_f32 v71, v219, v100 :: v_dual_sub_f32 v116, v212, v167
	v_add_f32_e32 v83, v83, v114
	v_dual_mul_f32 v189, 0x3ed4b147, v42 :: v_dual_mul_f32 v190, 0x3ed4b147, v43
	v_dual_mul_f32 v198, 0xbe11bafb, v67 :: v_dual_mul_f32 v199, 0xbe11bafb, v72
	s_delay_alu instid0(VALU_DEP_4) | instskip(NEXT) | instid1(VALU_DEP_4)
	v_add_f32_e32 v68, v116, v68
	v_dual_sub_f32 v116, v222, v172 :: v_dual_add_f32 v83, v107, v83
	v_dual_add_f32 v107, v119, v209 :: v_dual_add_f32 v64, v80, v64
	v_sub_f32_e32 v80, v200, v108
	v_dual_add_f32 v100, v161, v217 :: v_dual_add_f32 v59, v40, v59
	s_delay_alu instid0(VALU_DEP_3) | instskip(SKIP_1) | instid1(VALU_DEP_4)
	v_add_f32_e32 v83, v107, v83
	v_fmac_f32_e32 v221, 0xbf75a155, v60
	v_dual_add_f32 v80, v80, v64 :: v_dual_sub_f32 v73, v189, v73
	v_dual_add_f32 v64, v71, v66 :: v_dual_add_f32 v71, v41, v99
	v_add_f32_e32 v58, v59, v58
	v_add_f32_e32 v66, v63, v184
	v_dual_mul_f32 v206, 0xbf27a4f4, v75 :: v_dual_mul_f32 v207, 0xbf27a4f4, v76
	s_delay_alu instid0(VALU_DEP_4) | instskip(NEXT) | instid1(VALU_DEP_4)
	v_add_f32_e32 v71, v71, v98
	v_dual_sub_f32 v62, v176, v62 :: v_dual_add_f32 v57, v58, v57
	v_dual_mul_f32 v214, 0xbf75a155, v79 :: v_dual_mul_f32 v215, 0xbf75a155, v81
	s_delay_alu instid0(VALU_DEP_3) | instskip(SKIP_3) | instid1(VALU_DEP_4)
	v_dual_add_f32 v71, v71, v97 :: v_dual_add_f32 v66, v41, v66
	v_sub_f32_e32 v107, v208, v115
	v_fma_f32 v43, 0x3f575c64, v43, -v123
	v_add_f32_e32 v56, v57, v56
	v_dual_add_f32 v71, v71, v96 :: v_dual_add_f32 v74, v74, v190
	v_fmac_f32_e32 v118, 0x3f575c64, v42
	v_fmac_f32_e32 v163, 0xbf27a4f4, v67
	s_delay_alu instid0(VALU_DEP_4) | instskip(NEXT) | instid1(VALU_DEP_4)
	v_add_f32_e32 v53, v56, v53
	v_dual_add_f32 v71, v71, v95 :: v_dual_add_f32 v66, v74, v66
	v_add_f32_e32 v74, v78, v199
	v_add_f32_e32 v80, v107, v80
	s_delay_alu instid0(VALU_DEP_4) | instskip(SKIP_1) | instid1(VALU_DEP_4)
	v_dual_add_f32 v52, v53, v52 :: v_dual_fmac_f32 v169, 0x3ed4b147, v75
	v_add_f32_e32 v63, v100, v83
	v_dual_add_f32 v59, v74, v66 :: v_dual_add_f32 v66, v103, v207
	v_add_f32_e32 v62, v40, v62
	s_delay_alu instid0(VALU_DEP_4)
	v_add_f32_e32 v42, v52, v47
	v_fma_f32 v47, 0xbf27a4f4, v72, -v166
	v_sub_f32_e32 v83, v216, v120
	v_dual_add_f32 v59, v66, v59 :: v_dual_add_f32 v66, v71, v94
	v_dual_add_f32 v71, v112, v215 :: v_dual_add_f32 v62, v73, v62
	v_sub_f32_e32 v73, v198, v77
	v_add_f32_e32 v42, v42, v46
	v_fma_f32 v46, 0x3ed4b147, v76, -v170
	s_delay_alu instid0(VALU_DEP_4) | instskip(SKIP_4) | instid1(VALU_DEP_4)
	v_add_f32_e32 v57, v71, v59
	v_fma_f32 v59, 0xbf75a155, v61, -v70
	v_sub_f32_e32 v58, v206, v82
	v_add_f32_e32 v62, v73, v62
	v_add_f32_e32 v42, v42, v45
	v_dual_add_f32 v68, v116, v68 :: v_dual_add_f32 v41, v41, v59
	v_fmac_f32_e32 v173, 0xbe11bafb, v79
	s_delay_alu instid0(VALU_DEP_2) | instskip(NEXT) | instid1(VALU_DEP_1)
	v_dual_add_f32 v43, v43, v41 :: v_dual_add_f32 v58, v58, v62
	v_dual_sub_f32 v62, v214, v110 :: v_dual_add_f32 v43, v47, v43
	scratch_load_b32 v47, off, off          ; 4-byte Folded Reload
	v_add_f32_e32 v43, v46, v43
	v_fma_f32 v46, 0xbe11bafb, v81, -v175
	s_delay_alu instid0(VALU_DEP_1) | instskip(NEXT) | instid1(VALU_DEP_1)
	v_dual_add_f32 v40, v40, v221 :: v_dual_add_f32 v43, v46, v43
	v_add_f32_e32 v40, v118, v40
	s_delay_alu instid0(VALU_DEP_1) | instskip(SKIP_4) | instid1(VALU_DEP_1)
	v_add_f32_e32 v40, v163, v40
	v_add_f32_e32 v56, v62, v58
	v_add_f32_e32 v62, v83, v80
	s_wait_loadcnt 0x0
	v_mul_u32_u24_e32 v47, 0x42, v47
	v_dual_add_f32 v66, v66, v93 :: v_dual_add_nc_u32 v45, v47, v182
	s_delay_alu instid0(VALU_DEP_1) | instskip(SKIP_2) | instid1(VALU_DEP_4)
	v_add_f32_e32 v58, v66, v92
	v_add_f32_e32 v47, v169, v40
	;; [unrolled: 1-line block ×3, first 2 shown]
	v_lshl_add_u32 v44, v45, 3, v181
	s_delay_alu instid0(VALU_DEP_4) | instskip(NEXT) | instid1(VALU_DEP_4)
	v_add_f32_e32 v53, v58, v87
	v_add_f32_e32 v42, v173, v47
	s_delay_alu instid0(VALU_DEP_2)
	v_add_f32_e32 v41, v53, v86
	ds_store_2addr_b64 v44, v[40:41], v[56:57] offset1:6
	ds_store_2addr_b64 v44, v[62:63], v[64:65] offset0:12 offset1:18
	ds_store_2addr_b64 v44, v[68:69], v[101:102] offset0:24 offset1:30
	;; [unrolled: 1-line block ×4, first 2 shown]
	ds_store_b64 v44, v[177:178] offset:480
.LBB0_5:
	s_wait_alu 0xfffe
	s_or_b32 exec_lo, exec_lo, s2
	v_add_co_u32 v66, null, 0x108, v179
	v_lshlrev_b32_e32 v93, 3, v179
	v_add_co_u32 v65, null, 0x14a, v179
	global_wb scope:SCOPE_SE
	s_wait_storecnt_dscnt 0x0
	s_barrier_signal -1
	s_barrier_wait -1
	global_inv scope:SCOPE_SE
	global_load_b64 v[165:166], v93, s[10:11] offset:480
	v_and_b32_e32 v45, 0xffff, v66
	v_and_b32_e32 v46, 0xffff, v65
	v_add_co_u32 v64, null, 0xc6, v179
	v_add_nc_u32_e32 v44, 0x210, v179
	s_delay_alu instid0(VALU_DEP_4) | instskip(NEXT) | instid1(VALU_DEP_4)
	v_mul_u32_u24_e32 v56, 0xf83f, v45
	v_mul_u32_u24_e32 v60, 0xf83f, v46
	s_delay_alu instid0(VALU_DEP_2) | instskip(SKIP_1) | instid1(VALU_DEP_3)
	v_lshrrev_b32_e32 v46, 22, v56
	v_lshrrev_b32_e32 v61, 23, v56
	v_lshrrev_b32_e32 v76, 23, v60
	s_delay_alu instid0(VALU_DEP_3) | instskip(NEXT) | instid1(VALU_DEP_3)
	v_mul_lo_u16 v46, 0x42, v46
	v_mul_lo_u16 v77, 0x84, v61
	s_delay_alu instid0(VALU_DEP_2) | instskip(NEXT) | instid1(VALU_DEP_2)
	v_sub_nc_u16 v46, v66, v46
	v_sub_nc_u16 v103, v66, v77
	v_lshlrev_b32_e32 v66, 4, v66
	s_delay_alu instid0(VALU_DEP_3) | instskip(NEXT) | instid1(VALU_DEP_3)
	v_and_b32_e32 v46, 0xffff, v46
	v_lshlrev_b16 v109, 4, v103
	s_delay_alu instid0(VALU_DEP_2) | instskip(SKIP_3) | instid1(VALU_DEP_2)
	v_lshlrev_b32_e32 v98, 3, v46
	global_load_b64 v[173:174], v98, s[10:11] offset:480
	v_and_b32_e32 v41, 0xff, v84
	v_and_b32_e32 v42, 0xffff, v64
	v_mul_lo_u16 v41, 0xf9, v41
	s_delay_alu instid0(VALU_DEP_2) | instskip(NEXT) | instid1(VALU_DEP_2)
	v_mul_u32_u24_e32 v42, 0xf83f, v42
	v_lshrrev_b16 v41, 14, v41
	s_delay_alu instid0(VALU_DEP_2) | instskip(NEXT) | instid1(VALU_DEP_2)
	v_lshrrev_b32_e32 v42, 22, v42
	v_mul_lo_u16 v41, 0x42, v41
	s_delay_alu instid0(VALU_DEP_2) | instskip(NEXT) | instid1(VALU_DEP_2)
	v_mul_lo_u16 v42, 0x42, v42
	v_sub_nc_u16 v41, v84, v41
	s_delay_alu instid0(VALU_DEP_2) | instskip(SKIP_1) | instid1(VALU_DEP_3)
	v_sub_nc_u16 v42, v64, v42
	v_lshlrev_b32_e32 v64, 4, v64
	v_and_b32_e32 v41, 0xff, v41
	s_delay_alu instid0(VALU_DEP_3) | instskip(NEXT) | instid1(VALU_DEP_2)
	v_and_b32_e32 v42, 0xffff, v42
	v_lshlrev_b32_e32 v86, 3, v41
	v_lshrrev_b32_e32 v41, 22, v60
	global_load_b64 v[175:176], v86, s[10:11] offset:480
	v_lshlrev_b32_e32 v87, 3, v42
	v_mul_lo_u16 v41, 0x42, v41
	global_load_b64 v[171:172], v87, s[10:11] offset:480
	v_add_nc_u32_e32 v40, 0x18c, v179
	v_add_nc_u32_e32 v43, 0x1ce, v179
	v_and_b32_e32 v45, 0xffff, v44
	v_sub_nc_u16 v41, v65, v41
	s_delay_alu instid0(VALU_DEP_4) | instskip(NEXT) | instid1(VALU_DEP_4)
	v_and_b32_e32 v47, 0xffff, v40
	v_and_b32_e32 v52, 0xffff, v43
	s_delay_alu instid0(VALU_DEP_4) | instskip(NEXT) | instid1(VALU_DEP_4)
	v_mul_u32_u24_e32 v45, 0xf83f, v45
	v_and_b32_e32 v41, 0xffff, v41
	s_delay_alu instid0(VALU_DEP_4) | instskip(NEXT) | instid1(VALU_DEP_4)
	v_mul_u32_u24_e32 v42, 0xf83f, v47
	v_mul_u32_u24_e32 v47, 0xf83f, v52
	s_delay_alu instid0(VALU_DEP_4) | instskip(NEXT) | instid1(VALU_DEP_4)
	v_lshrrev_b32_e32 v45, 22, v45
	v_lshlrev_b32_e32 v99, 3, v41
	s_delay_alu instid0(VALU_DEP_4) | instskip(NEXT) | instid1(VALU_DEP_4)
	v_lshrrev_b32_e32 v42, 22, v42
	v_lshrrev_b32_e32 v47, 22, v47
	s_delay_alu instid0(VALU_DEP_4) | instskip(SKIP_4) | instid1(VALU_DEP_2)
	v_mul_lo_u16 v45, 0x42, v45
	global_load_b64 v[169:170], v99, s[10:11] offset:480
	v_add_nc_u32_e32 v108, 0x1000, v180
	v_mul_lo_u16 v42, 0x42, v42
	v_mul_lo_u16 v47, 0x42, v47
	v_sub_nc_u16 v40, v40, v42
	s_delay_alu instid0(VALU_DEP_2) | instskip(SKIP_1) | instid1(VALU_DEP_3)
	v_sub_nc_u16 v42, v43, v47
	v_sub_nc_u16 v43, v44, v45
	v_and_b32_e32 v40, 0xffff, v40
	s_delay_alu instid0(VALU_DEP_3) | instskip(NEXT) | instid1(VALU_DEP_3)
	v_and_b32_e32 v41, 0xffff, v42
	v_and_b32_e32 v42, 0xffff, v43
	s_delay_alu instid0(VALU_DEP_3) | instskip(NEXT) | instid1(VALU_DEP_3)
	v_lshlrev_b32_e32 v100, 3, v40
	v_lshlrev_b32_e32 v101, 3, v41
	s_delay_alu instid0(VALU_DEP_3)
	v_lshlrev_b32_e32 v102, 3, v42
	s_clause 0x2
	global_load_b64 v[167:168], v100, s[10:11] offset:480
	global_load_b64 v[163:164], v101, s[10:11] offset:480
	;; [unrolled: 1-line block ×3, first 2 shown]
	v_add_nc_u32_e32 v53, 0x1800, v180
	v_add_nc_u32_e32 v52, 0x800, v180
	ds_load_2addr_b64 v[40:43], v180 offset1:66
	ds_load_2addr_b64 v[44:47], v180 offset0:132 offset1:198
	ds_load_2addr_b64 v[56:59], v108 offset0:16 offset1:82
	;; [unrolled: 1-line block ×5, first 2 shown]
	v_add_nc_u32_e32 v186, v181, v102
	v_add_nc_u32_e32 v187, v181, v101
	v_lshlrev_b32_e32 v67, 4, v85
	v_mul_lo_u16 v85, 0x84, v76
	v_add_nc_u32_e32 v189, v181, v99
	s_delay_alu instid0(VALU_DEP_2) | instskip(SKIP_3) | instid1(VALU_DEP_2)
	v_sub_nc_u16 v85, v65, v85
	s_wait_loadcnt_dscnt 0x702
	v_mul_f32_e32 v102, v60, v166
	v_mul_f32_e32 v101, v61, v166
	v_dual_mul_f32 v99, v59, v166 :: v_dual_fmac_f32 v102, v61, v165
	s_delay_alu instid0(VALU_DEP_2) | instskip(NEXT) | instid1(VALU_DEP_1)
	v_fma_f32 v60, v60, v165, -v101
	v_dual_sub_f32 v61, v43, v102 :: v_dual_sub_f32 v60, v42, v60
	s_delay_alu instid0(VALU_DEP_1) | instskip(NEXT) | instid1(VALU_DEP_2)
	v_fma_f32 v43, v43, 2.0, -v61
	v_fma_f32 v42, v42, 2.0, -v60
	s_wait_loadcnt 0x5
	v_mul_f32_e32 v102, v62, v176
	v_mul_f32_e32 v101, v63, v176
	s_delay_alu instid0(VALU_DEP_2)
	v_fmac_f32_e32 v102, v63, v175
	v_add_nc_u32_e32 v92, 0x2000, v180
	ds_load_2addr_b64 v[76:79], v53 offset0:156 offset1:222
	ds_load_2addr_b64 v[80:83], v52 offset0:140 offset1:206
	ds_load_2addr_b64 v[94:97], v92 offset0:32 offset1:98
	global_wb scope:SCOPE_SE
	s_wait_loadcnt_dscnt 0x0
	s_barrier_signal -1
	s_barrier_wait -1
	global_inv scope:SCOPE_SE
	v_mul_f32_e32 v63, v78, v168
	v_dual_mul_f32 v113, v96, v162 :: v_dual_add_nc_u32 v188, v181, v100
	v_mul_f32_e32 v100, v58, v166
	v_fma_f32 v58, v58, v165, -v99
	s_delay_alu instid0(VALU_DEP_4) | instskip(NEXT) | instid1(VALU_DEP_4)
	v_dual_mul_f32 v112, v97, v162 :: v_dual_fmac_f32 v63, v79, v167
	v_fmac_f32_e32 v113, v97, v161
	s_delay_alu instid0(VALU_DEP_4) | instskip(NEXT) | instid1(VALU_DEP_3)
	v_fmac_f32_e32 v100, v59, v165
	v_dual_sub_f32 v58, v40, v58 :: v_dual_sub_f32 v63, v81, v63
	s_delay_alu instid0(VALU_DEP_2) | instskip(NEXT) | instid1(VALU_DEP_2)
	v_sub_f32_e32 v59, v41, v100
	v_fma_f32 v40, v40, 2.0, -v58
	s_delay_alu instid0(VALU_DEP_2)
	v_fma_f32 v41, v41, 2.0, -v59
	ds_store_2addr_b64 v180, v[40:41], v[58:59] offset1:66
	ds_store_2addr_b64 v180, v[42:43], v[60:61] offset0:132 offset1:198
	v_fma_f32 v40, v62, v175, -v101
	v_mul_f32_e32 v41, v69, v172
	v_mul_f32_e32 v58, v68, v172
	;; [unrolled: 1-line block ×6, first 2 shown]
	v_dual_sub_f32 v40, v44, v40 :: v_dual_lshlrev_b32 v107, 4, v179
	v_mul_f32_e32 v60, v79, v168
	v_fma_f32 v68, v68, v171, -v41
	v_dual_mul_f32 v62, v95, v164 :: v_dual_add_nc_u32 v191, v181, v86
	v_dual_mul_f32 v101, v94, v164 :: v_dual_fmac_f32 v58, v69, v171
	v_sub_f32_e32 v41, v45, v102
	v_add_nc_u32_e32 v190, v181, v98
	v_fma_f32 v69, v70, v173, -v42
	s_delay_alu instid0(VALU_DEP_4)
	v_fmac_f32_e32 v101, v95, v163
	v_fmac_f32_e32 v59, v71, v173
	v_fma_f32 v70, v76, v169, -v43
	v_fmac_f32_e32 v61, v77, v169
	v_add_nc_u32_e32 v192, v181, v87
	v_fma_f32 v71, v78, v167, -v60
	v_fma_f32 v77, v96, v161, -v112
	v_fma_f32 v42, v44, 2.0, -v40
	v_sub_f32_e32 v44, v46, v68
	v_add_nc_u32_e32 v86, 0x800, v191
	v_fma_f32 v76, v94, v163, -v62
	v_fma_f32 v43, v45, 2.0, -v41
	v_sub_f32_e32 v45, v47, v58
	v_dual_sub_f32 v59, v73, v59 :: v_dual_add_nc_u32 v98, 0x1000, v190
	v_sub_f32_e32 v58, v72, v69
	v_dual_sub_f32 v60, v74, v70 :: v_dual_sub_f32 v61, v75, v61
	v_dual_sub_f32 v62, v80, v71 :: v_dual_add_nc_u32 v87, 0x800, v192
	v_add_nc_u32_e32 v110, 0x1000, v189
	v_dual_sub_f32 v70, v56, v77 :: v_dual_add_nc_u32 v99, 0x1800, v188
	v_dual_sub_f32 v71, v57, v113 :: v_dual_add_nc_u32 v100, 0x1800, v187
	v_dual_sub_f32 v68, v82, v76 :: v_dual_sub_f32 v69, v83, v101
	v_add_nc_u32_e32 v111, 0x2000, v186
	v_fma_f32 v46, v46, 2.0, -v44
	v_fma_f32 v47, v47, 2.0, -v45
	;; [unrolled: 1-line block ×12, first 2 shown]
	ds_store_2addr_b64 v86, v[42:43], v[40:41] offset0:8 offset1:74
	ds_store_2addr_b64 v87, v[46:47], v[44:45] offset0:140 offset1:206
	;; [unrolled: 1-line block ×7, first 2 shown]
	global_wb scope:SCOPE_SE
	s_wait_dscnt 0x0
	s_barrier_signal -1
	s_barrier_wait -1
	global_inv scope:SCOPE_SE
	s_clause 0x1
	global_load_b128 v[60:63], v107, s[10:11] offset:1008
	global_load_b128 v[56:59], v67, s[10:11] offset:1008
	v_lshlrev_b16 v40, 4, v85
	v_and_b32_e32 v41, 0xffff, v109
	s_delay_alu instid0(VALU_DEP_2) | instskip(NEXT) | instid1(VALU_DEP_2)
	v_and_b32_e32 v42, 0xffff, v40
	v_add_co_u32 v40, s2, s10, v41
	s_wait_alu 0xf1ff
	v_add_co_ci_u32_e64 v41, null, s11, 0, s2
	s_delay_alu instid0(VALU_DEP_3)
	v_add_co_u32 v42, s2, s10, v42
	s_wait_alu 0xf1ff
	v_add_co_ci_u32_e64 v43, null, s11, 0, s2
	s_clause 0x1
	global_load_b128 v[44:47], v[40:41], off offset:1008
	global_load_b128 v[40:43], v[42:43], off offset:1008
	ds_load_2addr_b64 v[68:71], v52 offset0:140 offset1:206
	v_and_b32_e32 v72, 0xffff, v103
	s_add_nc_u64 s[2:3], s[8:9], 0x2520
	s_wait_loadcnt_dscnt 0x300
	v_mul_f32_e32 v86, v68, v61
	s_wait_loadcnt 0x2
	v_mul_f32_e32 v123, v70, v57
	v_lshl_add_u32 v185, v72, 3, v181
	ds_load_2addr_b64 v[72:75], v53 offset0:24 offset1:90
	v_and_b32_e32 v76, 0xffff, v85
	v_mul_f32_e32 v122, v71, v57
	v_mul_f32_e32 v85, v69, v61
	v_add_nc_u32_e32 v87, 0x1800, v185
	s_delay_alu instid0(VALU_DEP_2)
	v_fma_f32 v68, v68, v60, -v85
	s_wait_dscnt 0x0
	v_mul_f32_e32 v194, v75, v59
	v_mul_f32_e32 v103, v72, v63
	v_lshl_add_u32 v184, v76, 3, v181
	ds_load_2addr_b64 v[76:79], v108 offset0:16 offset1:82
	ds_load_2addr_b64 v[80:83], v53 offset0:156 offset1:222
	ds_load_2addr_b64 v[94:97], v180 offset1:66
	ds_load_2addr_b64 v[98:101], v180 offset0:132 offset1:198
	ds_load_2addr_b64 v[109:112], v52 offset0:8 offset1:74
	;; [unrolled: 1-line block ×4, first 2 shown]
	v_mul_f32_e32 v102, v73, v63
	v_mul_f32_e32 v195, v74, v59
	v_add_nc_u32_e32 v121, 0x1800, v184
	v_fmac_f32_e32 v86, v69, v60
	v_fma_f32 v70, v70, v56, -v122
	v_fma_f32 v69, v72, v62, -v102
	v_fmac_f32_e32 v195, v75, v58
	v_fma_f32 v72, v74, v58, -v194
	v_fmac_f32_e32 v103, v73, v62
	v_fmac_f32_e32 v123, v71, v56
	global_wb scope:SCOPE_SE
	s_wait_loadcnt_dscnt 0x0
	s_barrier_signal -1
	s_barrier_wait -1
	v_sub_f32_e32 v102, v86, v103
	v_mul_f32_e32 v198, v81, v63
	v_mul_f32_e32 v199, v80, v63
	;; [unrolled: 1-line block ×3, first 2 shown]
	v_dual_mul_f32 v203, v82, v59 :: v_dual_mul_f32 v196, v77, v61
	v_mul_f32_e32 v197, v76, v61
	v_mul_f32_e32 v200, v79, v57
	;; [unrolled: 1-line block ×3, first 2 shown]
	v_dual_mul_f32 v204, v114, v45 :: v_dual_mul_f32 v207, v117, v47
	v_dual_mul_f32 v205, v113, v45 :: v_dual_mul_f32 v206, v118, v47
	;; [unrolled: 1-line block ×4, first 2 shown]
	v_fma_f32 v71, v76, v60, -v196
	v_fmac_f32_e32 v197, v77, v60
	v_fma_f32 v74, v80, v62, -v198
	v_fmac_f32_e32 v199, v81, v62
	;; [unrolled: 2-line block ×3, first 2 shown]
	v_fma_f32 v78, v82, v58, -v202
	v_fma_f32 v75, v113, v44, -v204
	v_fmac_f32_e32 v205, v114, v44
	v_fma_f32 v80, v117, v46, -v206
	v_add_f32_e32 v82, v86, v103
	v_sub_f32_e32 v114, v123, v195
	v_fmac_f32_e32 v203, v83, v58
	v_dual_fmac_f32 v207, v118, v46 :: v_dual_add_f32 v122, v99, v197
	v_fma_f32 v76, v115, v40, -v208
	v_dual_fmac_f32 v209, v116, v40 :: v_dual_sub_f32 v194, v71, v74
	v_fma_f32 v85, v119, v42, -v210
	v_dual_add_f32 v118, v98, v71 :: v_dual_fmac_f32 v211, v120, v42
	v_dual_add_f32 v79, v68, v69 :: v_dual_sub_f32 v202, v73, v78
	v_dual_add_f32 v81, v95, v86 :: v_dual_add_f32 v200, v101, v201
	v_add_f32_e32 v86, v70, v72
	v_dual_add_f32 v116, v123, v195 :: v_dual_add_f32 v77, v94, v68
	v_add_f32_e32 v196, v100, v73
	v_dual_add_f32 v83, v96, v70 :: v_dual_add_f32 v206, v75, v80
	v_dual_add_f32 v115, v97, v123 :: v_dual_add_f32 v210, v110, v205
	;; [unrolled: 1-line block ×3, first 2 shown]
	v_sub_f32_e32 v120, v197, v199
	v_dual_add_f32 v123, v197, v199 :: v_dual_sub_f32 v212, v75, v80
	v_dual_add_f32 v197, v73, v78 :: v_dual_add_f32 v216, v112, v209
	v_sub_f32_e32 v198, v201, v203
	v_add_f32_e32 v201, v201, v203
	v_dual_sub_f32 v113, v68, v69 :: v_dual_add_f32 v204, v109, v75
	v_dual_sub_f32 v117, v70, v72 :: v_dual_sub_f32 v208, v205, v207
	v_dual_add_f32 v205, v205, v207 :: v_dual_add_f32 v74, v118, v74
	v_dual_sub_f32 v215, v209, v211 :: v_dual_add_f32 v78, v196, v78
	s_delay_alu instid0(VALU_DEP_4)
	v_dual_add_f32 v209, v209, v211 :: v_dual_add_f32 v80, v204, v80
	v_fma_f32 v70, -0.5, v79, v94
	v_fma_f32 v71, -0.5, v82, v95
	;; [unrolled: 1-line block ×3, first 2 shown]
	v_dual_fmac_f32 v97, -0.5, v116 :: v_dual_add_f32 v86, v216, v211
	v_dual_add_f32 v213, v111, v76 :: v_dual_add_f32 v68, v77, v69
	v_dual_sub_f32 v217, v76, v85 :: v_dual_fmamk_f32 v94, v102, 0x3f5db3d7, v70
	v_add_f32_e32 v72, v83, v72
	v_fma_f32 v76, -0.5, v119, v98
	v_fma_f32 v77, -0.5, v123, v99
	;; [unrolled: 1-line block ×3, first 2 shown]
	v_fmac_f32_e32 v101, -0.5, v201
	v_dual_add_f32 v69, v81, v103 :: v_dual_fmac_f32 v112, -0.5, v209
	v_dual_add_f32 v73, v115, v195 :: v_dual_fmac_f32 v70, 0xbf5db3d7, v102
	v_fma_f32 v82, -0.5, v206, v109
	v_fma_f32 v83, -0.5, v205, v110
	;; [unrolled: 1-line block ×3, first 2 shown]
	v_add_f32_e32 v75, v122, v199
	v_dual_add_f32 v79, v200, v203 :: v_dual_fmamk_f32 v98, v114, 0x3f5db3d7, v96
	v_fmamk_f32 v95, v113, 0xbf5db3d7, v71
	v_fmamk_f32 v99, v117, 0xbf5db3d7, v97
	v_fmac_f32_e32 v71, 0x3f5db3d7, v113
	v_fmac_f32_e32 v96, 0xbf5db3d7, v114
	v_dual_fmac_f32 v97, 0x3f5db3d7, v117 :: v_dual_fmamk_f32 v102, v120, 0x3f5db3d7, v76
	v_dual_fmamk_f32 v103, v194, 0xbf5db3d7, v77 :: v_dual_fmamk_f32 v116, v217, 0xbf5db3d7, v112
	v_fmamk_f32 v109, v198, 0x3f5db3d7, v100
	v_fmamk_f32 v110, v202, 0xbf5db3d7, v101
	global_inv scope:SCOPE_SE
	v_dual_add_f32 v81, v210, v207 :: v_dual_fmac_f32 v76, 0xbf5db3d7, v120
	v_dual_add_f32 v85, v213, v85 :: v_dual_fmac_f32 v100, 0xbf5db3d7, v198
	v_dual_fmac_f32 v77, 0x3f5db3d7, v194 :: v_dual_fmac_f32 v112, 0x3f5db3d7, v217
	v_fmac_f32_e32 v101, 0x3f5db3d7, v202
	v_fmamk_f32 v113, v208, 0x3f5db3d7, v82
	v_fmac_f32_e32 v82, 0xbf5db3d7, v208
	v_fmamk_f32 v114, v212, 0xbf5db3d7, v83
	v_fmac_f32_e32 v83, 0x3f5db3d7, v212
	v_fmamk_f32 v115, v215, 0x3f5db3d7, v111
	v_fmac_f32_e32 v111, 0xbf5db3d7, v215
	ds_store_2addr_b64 v180, v[68:69], v[72:73] offset1:66
	ds_store_2addr_b64 v52, v[74:75], v[78:79] offset0:140 offset1:206
	ds_store_2addr_b64 v180, v[94:95], v[98:99] offset0:132 offset1:198
	;; [unrolled: 1-line block ×6, first 2 shown]
	ds_store_b64 v185, v[82:83] offset:8448
	ds_store_2addr_b64 v121, v[85:86], v[115:116] offset0:24 offset1:156
	ds_store_b64 v184, v[111:112] offset:8448
	v_lshlrev_b32_e32 v72, 4, v84
	global_wb scope:SCOPE_SE
	s_wait_dscnt 0x0
	s_barrier_signal -1
	s_barrier_wait -1
	global_inv scope:SCOPE_SE
	s_clause 0x3
	global_load_b128 v[68:71], v107, s[10:11] offset:3120
	global_load_b128 v[80:83], v72, s[10:11] offset:3120
	;; [unrolled: 1-line block ×4, first 2 shown]
	v_lshlrev_b32_e32 v64, 4, v65
	s_clause 0x1
	global_load_b128 v[72:75], v66, s[10:11] offset:3120
	global_load_b128 v[64:67], v64, s[10:11] offset:3120
	ds_load_2addr_b64 v[94:97], v52 offset0:140 offset1:206
	ds_load_2addr_b64 v[98:101], v53 offset0:24 offset1:90
	;; [unrolled: 1-line block ×4, first 2 shown]
	ds_load_2addr_b64 v[117:120], v180 offset1:66
	ds_load_2addr_b64 v[196:199], v108 offset0:148 offset1:214
	ds_load_2addr_b64 v[200:203], v180 offset0:132 offset1:198
	;; [unrolled: 1-line block ×4, first 2 shown]
	v_lshl_add_u32 v195, v91, 3, v90
	s_delay_alu instid0(VALU_DEP_1)
	v_add_nc_u32_e32 v123, 0x1800, v195
	v_add_nc_u32_e32 v194, 0x2000, v195
	;; [unrolled: 1-line block ×3, first 2 shown]
	s_wait_loadcnt_dscnt 0x508
	v_mul_f32_e32 v91, v94, v69
	s_wait_loadcnt_dscnt 0x406
	v_mul_f32_e32 v214, v110, v81
	s_wait_loadcnt 0x3
	v_mul_f32_e32 v121, v97, v85
	s_wait_loadcnt 0x2
	v_mul_f32_e32 v218, v112, v77
	v_mul_f32_e32 v122, v96, v85
	;; [unrolled: 1-line block ×5, first 2 shown]
	s_wait_loadcnt_dscnt 0x3
	v_dual_mul_f32 v103, v98, v71 :: v_dual_mul_f32 v226, v199, v65
	v_dual_mul_f32 v213, v100, v87 :: v_dual_fmac_f32 v122, v97, v84
	v_dual_mul_f32 v215, v109, v81 :: v_dual_mul_f32 v216, v114, v83
	v_mul_f32_e32 v219, v111, v77
	v_mul_f32_e32 v222, v197, v73
	s_wait_dscnt 0x1
	v_dual_mul_f32 v223, v196, v73 :: v_dual_mul_f32 v224, v205, v75
	v_fma_f32 v97, v109, v80, -v214
	v_fmac_f32_e32 v91, v95, v68
	v_fma_f32 v95, v96, v84, -v121
	v_fma_f32 v96, v100, v86, -v212
	v_mul_f32_e32 v217, v113, v83
	v_dual_mul_f32 v220, v116, v79 :: v_dual_mul_f32 v227, v198, v65
	v_dual_mul_f32 v228, v207, v67 :: v_dual_fmac_f32 v213, v101, v86
	v_mul_f32_e32 v225, v204, v75
	v_mul_f32_e32 v229, v206, v67
	v_fma_f32 v90, v94, v68, -v90
	v_mul_f32_e32 v221, v115, v79
	v_fma_f32 v94, v98, v70, -v102
	v_fmac_f32_e32 v219, v112, v76
	v_fma_f32 v100, v196, v72, -v222
	v_fma_f32 v109, v204, v74, -v224
	v_add_f32_e32 v196, v95, v96
	v_dual_add_f32 v204, v200, v97 :: v_dual_fmac_f32 v103, v99, v70
	v_add_f32_e32 v112, v118, v91
	v_fmac_f32_e32 v215, v110, v80
	v_fmac_f32_e32 v217, v114, v82
	v_fma_f32 v98, v113, v82, -v216
	v_add_f32_e32 v114, v91, v103
	v_fma_f32 v99, v111, v76, -v218
	v_fma_f32 v102, v115, v78, -v220
	v_fmac_f32_e32 v223, v197, v72
	v_fma_f32 v101, v198, v64, -v226
	v_dual_fmac_f32 v227, v199, v64 :: v_dual_sub_f32 v214, v97, v98
	v_fma_f32 v113, v206, v66, -v228
	v_add_f32_e32 v110, v117, v90
	v_dual_fmac_f32 v221, v116, v78 :: v_dual_sub_f32 v116, v91, v103
	v_add_f32_e32 v212, v215, v217
	v_add_f32_e32 v198, v120, v122
	s_wait_dscnt 0x0
	v_dual_fmac_f32 v229, v207, v66 :: v_dual_add_f32 v224, v208, v100
	v_dual_sub_f32 v206, v215, v217 :: v_dual_add_f32 v111, v90, v94
	v_dual_add_f32 v220, v203, v219 :: v_dual_sub_f32 v197, v122, v213
	v_sub_f32_e32 v222, v99, v102
	v_dual_add_f32 v122, v122, v213 :: v_dual_fmac_f32 v225, v205, v74
	v_dual_sub_f32 v218, v219, v221 :: v_dual_sub_f32 v121, v90, v94
	v_dual_add_f32 v226, v100, v109 :: v_dual_add_f32 v115, v119, v95
	v_dual_add_f32 v232, v210, v101 :: v_dual_add_f32 v207, v201, v215
	v_sub_f32_e32 v234, v227, v229
	v_add_f32_e32 v216, v99, v102
	v_dual_sub_f32 v199, v95, v96 :: v_dual_add_f32 v230, v209, v223
	v_dual_add_f32 v205, v97, v98 :: v_dual_sub_f32 v228, v223, v225
	v_dual_add_f32 v219, v219, v221 :: v_dual_add_f32 v90, v110, v94
	v_dual_add_f32 v233, v101, v113 :: v_dual_add_f32 v98, v204, v98
	s_delay_alu instid0(VALU_DEP_4)
	v_dual_add_f32 v235, v211, v227 :: v_dual_add_f32 v110, v230, v225
	v_fma_f32 v94, -0.5, v111, v117
	v_add_f32_e32 v227, v227, v229
	v_dual_add_f32 v223, v223, v225 :: v_dual_fmac_f32 v120, -0.5, v122
	v_fma_f32 v95, -0.5, v114, v118
	v_fma_f32 v119, -0.5, v196, v119
	v_dual_add_f32 v215, v202, v99 :: v_dual_sub_f32 v236, v101, v113
	v_dual_sub_f32 v231, v100, v109 :: v_dual_add_f32 v96, v115, v96
	v_fma_f32 v100, -0.5, v205, v200
	v_fma_f32 v101, -0.5, v212, v201
	;; [unrolled: 1-line block ×3, first 2 shown]
	v_dual_fmac_f32 v203, -0.5, v219 :: v_dual_add_f32 v114, v235, v229
	v_fma_f32 v210, -0.5, v233, v210
	v_fmamk_f32 v115, v116, 0x3f5db3d7, v94
	v_dual_fmac_f32 v94, 0xbf5db3d7, v116 :: v_dual_fmac_f32 v211, -0.5, v227
	v_dual_fmamk_f32 v196, v218, 0x3f5db3d7, v202 :: v_dual_add_f32 v91, v112, v103
	v_dual_add_f32 v102, v215, v102 :: v_dual_add_f32 v97, v198, v213
	v_fmamk_f32 v116, v121, 0xbf5db3d7, v95
	v_fma_f32 v111, -0.5, v226, v208
	v_fma_f32 v112, -0.5, v223, v209
	v_fmac_f32_e32 v95, 0x3f5db3d7, v121
	v_dual_add_f32 v103, v220, v221 :: v_dual_fmamk_f32 v118, v199, 0xbf5db3d7, v120
	v_dual_fmamk_f32 v117, v197, 0x3f5db3d7, v119 :: v_dual_fmamk_f32 v200, v234, 0x3f5db3d7, v210
	v_dual_add_f32 v99, v207, v217 :: v_dual_fmac_f32 v120, 0x3f5db3d7, v199
	v_dual_add_f32 v113, v232, v113 :: v_dual_fmamk_f32 v122, v214, 0xbf5db3d7, v101
	v_dual_fmac_f32 v119, 0xbf5db3d7, v197 :: v_dual_fmac_f32 v202, 0xbf5db3d7, v218
	v_dual_fmamk_f32 v121, v206, 0x3f5db3d7, v100 :: v_dual_fmamk_f32 v198, v228, 0x3f5db3d7, v111
	v_fmac_f32_e32 v101, 0x3f5db3d7, v214
	v_dual_fmamk_f32 v197, v222, 0xbf5db3d7, v203 :: v_dual_fmac_f32 v210, 0xbf5db3d7, v234
	v_fmamk_f32 v201, v236, 0xbf5db3d7, v211
	v_fmac_f32_e32 v211, 0x3f5db3d7, v236
	v_dual_add_f32 v109, v224, v109 :: v_dual_fmac_f32 v100, 0xbf5db3d7, v206
	v_fmac_f32_e32 v203, 0x3f5db3d7, v222
	v_fmac_f32_e32 v111, 0xbf5db3d7, v228
	v_fmamk_f32 v199, v231, 0xbf5db3d7, v112
	v_fmac_f32_e32 v112, 0x3f5db3d7, v231
	ds_store_b64 v180, v[115:116] offset:3168
	ds_store_b64 v180, v[94:95] offset:6336
	ds_store_2addr_b64 v180, v[90:91], v[96:97] offset1:66
	ds_store_b64 v180, v[117:118] offset:3696
	ds_store_b64 v180, v[119:120] offset:6864
	ds_store_2addr_b64 v180, v[98:99], v[102:103] offset0:132 offset1:198
	ds_store_2addr_b64 v107, v[121:122], v[196:197] offset0:16 offset1:82
	ds_store_2addr_b64 v123, v[100:101], v[202:203] offset0:156 offset1:222
	ds_store_2addr_b64 v52, v[109:110], v[113:114] offset0:8 offset1:74
	ds_store_2addr_b64 v107, v[198:199], v[200:201] offset0:148 offset1:214
	ds_store_2addr_b64 v194, v[111:112], v[210:211] offset0:32 offset1:98
	global_wb scope:SCOPE_SE
	s_wait_dscnt 0x0
	s_barrier_signal -1
	s_barrier_wait -1
	global_inv scope:SCOPE_SE
	s_clause 0x11
	global_load_b64 v[101:102], v[88:89], off offset:9504
	global_load_b64 v[121:122], v93, s[2:3] offset:1584
	global_load_b64 v[208:209], v93, s[2:3] offset:3168
	;; [unrolled: 1-line block ×17, first 2 shown]
	ds_load_2addr_b64 v[88:91], v180 offset1:66
	ds_load_2addr_b64 v[93:96], v180 offset0:132 offset1:198
	ds_load_2addr_b64 v[97:100], v52 offset0:140 offset1:206
	;; [unrolled: 1-line block ×8, first 2 shown]
	s_wait_loadcnt_dscnt 0x1108
	v_mul_f32_e32 v107, v89, v102
	v_mul_f32_e32 v103, v88, v102
	s_wait_loadcnt_dscnt 0xf06
	v_dual_mul_f32 v194, v96, v122 :: v_dual_mul_f32 v241, v98, v209
	v_mul_f32_e32 v240, v97, v209
	s_wait_loadcnt_dscnt 0xe05
	v_mul_f32_e32 v242, v112, v211
	v_mul_f32_e32 v209, v111, v211
	s_wait_loadcnt_dscnt 0xd04
	v_mul_f32_e32 v243, v114, v213
	s_wait_loadcnt_dscnt 0xc03
	v_dual_mul_f32 v211, v113, v213 :: v_dual_mul_f32 v244, v120, v215
	v_mul_f32_e32 v213, v119, v215
	s_wait_loadcnt 0xb
	v_mul_f32_e32 v245, v91, v217
	s_wait_loadcnt_dscnt 0xa02
	v_dual_mul_f32 v215, v90, v217 :: v_dual_mul_f32 v246, v197, v219
	v_mul_f32_e32 v217, v196, v219
	s_wait_loadcnt 0x9
	;; [unrolled: 5-line block ×3, first 2 shown]
	v_mul_f32_e32 v249, v116, v225
	v_mul_f32_e32 v223, v115, v225
	v_dual_mul_f32 v123, v95, v122 :: v_dual_fmac_f32 v240, v98, v208
	s_wait_loadcnt_dscnt 0x600
	v_mul_f32_e32 v250, v205, v227
	v_mul_f32_e32 v225, v204, v227
	s_wait_loadcnt 0x5
	v_mul_f32_e32 v251, v94, v229
	s_wait_loadcnt 0x4
	v_dual_mul_f32 v227, v93, v229 :: v_dual_mul_f32 v252, v199, v231
	v_mul_f32_e32 v229, v198, v231
	s_wait_loadcnt 0x2
	v_mul_f32_e32 v253, v110, v235
	v_dual_mul_f32 v231, v109, v235 :: v_dual_mul_f32 v254, v203, v233
	v_mul_f32_e32 v235, v202, v233
	s_wait_loadcnt 0x1
	v_mul_f32_e32 v255, v118, v237
	v_mul_f32_e32 v233, v117, v237
	s_wait_loadcnt 0x0
	v_mul_f32_e32 v183, v207, v239
	v_mul_f32_e32 v237, v206, v239
	v_fma_f32 v102, v88, v101, -v107
	v_fmac_f32_e32 v103, v89, v101
	v_fma_f32 v122, v95, v121, -v194
	v_fmac_f32_e32 v209, v112, v210
	v_fmac_f32_e32 v211, v114, v212
	;; [unrolled: 1-line block ×4, first 2 shown]
	v_add_nc_u32_e32 v194, 0xc00, v180
	v_fma_f32 v239, v97, v208, -v241
	v_fma_f32 v208, v111, v210, -v242
	;; [unrolled: 1-line block ×6, first 2 shown]
	v_fmac_f32_e32 v217, v197, v218
	v_fma_f32 v218, v99, v220, -v247
	v_fmac_f32_e32 v219, v100, v220
	v_fma_f32 v220, v200, v222, -v248
	;; [unrolled: 2-line block ×3, first 2 shown]
	v_fmac_f32_e32 v223, v116, v224
	v_fmac_f32_e32 v123, v96, v121
	v_fma_f32 v224, v204, v226, -v250
	v_fmac_f32_e32 v225, v205, v226
	v_fma_f32 v226, v93, v228, -v251
	;; [unrolled: 2-line block ×7, first 2 shown]
	v_fmac_f32_e32 v237, v207, v238
	ds_store_2addr_b64 v180, v[102:103], v[214:215] offset1:66
	ds_store_2addr_b64 v52, v[239:240], v[218:219] offset0:140 offset1:206
	ds_store_2addr_b64 v53, v[210:211], v[222:223] offset0:24 offset1:90
	;; [unrolled: 1-line block ×8, first 2 shown]
	global_wb scope:SCOPE_SE
	s_wait_dscnt 0x0
	s_barrier_signal -1
	s_barrier_wait -1
	global_inv scope:SCOPE_SE
	ds_load_2addr_b64 v[88:91], v180 offset1:66
	ds_load_2addr_b64 v[93:96], v52 offset0:140 offset1:206
	ds_load_2addr_b64 v[97:100], v53 offset0:24 offset1:90
	;; [unrolled: 1-line block ×8, first 2 shown]
	global_wb scope:SCOPE_SE
	s_wait_dscnt 0x0
	s_barrier_signal -1
	s_barrier_wait -1
	global_inv scope:SCOPE_SE
	v_add_f32_e32 v92, v88, v93
	v_sub_f32_e32 v102, v94, v98
	v_add_f32_e32 v208, v90, v95
	v_sub_f32_e32 v210, v96, v100
	v_add_f32_e32 v212, v196, v200
	v_add_f32_e32 v213, v200, v204
	v_dual_sub_f32 v200, v200, v204 :: v_dual_add_f32 v103, v89, v94
	v_add_f32_e32 v94, v94, v98
	v_sub_f32_e32 v222, v203, v207
	v_add_f32_e32 v223, v199, v203
	v_dual_add_f32 v203, v203, v207 :: v_dual_add_f32 v220, v198, v202
	v_add_f32_e32 v221, v202, v206
	v_sub_f32_e32 v202, v202, v206
	v_fma_f32 v89, -0.5, v94, v89
	v_add_f32_e32 v107, v111, v115
	v_fmac_f32_e32 v199, -0.5, v203
	v_add_f32_e32 v121, v115, v119
	v_sub_f32_e32 v115, v115, v119
	v_add_f32_e32 v101, v93, v97
	v_add_f32_e32 v211, v91, v96
	;; [unrolled: 1-line block ×3, first 2 shown]
	v_sub_f32_e32 v214, v201, v205
	v_add_f32_e32 v215, v197, v201
	v_fma_f32 v88, -0.5, v101, v88
	v_dual_add_f32 v201, v201, v205 :: v_dual_sub_f32 v122, v116, v120
	v_add_f32_e32 v209, v95, v99
	v_sub_f32_e32 v95, v95, v99
	s_delay_alu instid0(VALU_DEP_4)
	v_fmamk_f32 v203, v102, 0xbf5db3d7, v88
	v_add_f32_e32 v217, v113, v117
	v_add_f32_e32 v216, v109, v113
	v_sub_f32_e32 v218, v114, v118
	v_add_f32_e32 v92, v92, v97
	v_add_f32_e32 v99, v208, v99
	v_fmac_f32_e32 v91, -0.5, v96
	v_add_f32_e32 v96, v212, v204
	v_fma_f32 v109, -0.5, v217, v109
	v_sub_f32_e32 v93, v93, v97
	v_add_f32_e32 v97, v103, v98
	v_fma_f32 v98, -0.5, v121, v111
	v_fma_f32 v121, -0.5, v201, v197
	v_add_f32_e32 v94, v107, v119
	v_dual_fmac_f32 v88, 0x3f5db3d7, v102 :: v_dual_add_f32 v119, v99, v96
	v_add_f32_e32 v100, v211, v100
	s_delay_alu instid0(VALU_DEP_4)
	v_fmamk_f32 v204, v200, 0x3f5db3d7, v121
	v_fmac_f32_e32 v121, 0xbf5db3d7, v200
	v_sub_f32_e32 v200, v99, v96
	v_fmamk_f32 v96, v218, 0xbf5db3d7, v109
	v_fmamk_f32 v102, v93, 0x3f5db3d7, v89
	v_fmac_f32_e32 v89, 0xbf5db3d7, v93
	v_fmamk_f32 v93, v122, 0xbf5db3d7, v98
	v_dual_fmac_f32 v98, 0x3f5db3d7, v122 :: v_dual_add_f32 v183, v112, v116
	v_dual_add_f32 v116, v116, v120 :: v_dual_sub_f32 v113, v113, v117
	v_fma_f32 v197, -0.5, v221, v198
	v_add_f32_e32 v111, v92, v94
	s_delay_alu instid0(VALU_DEP_4) | instskip(NEXT) | instid1(VALU_DEP_4)
	v_add_f32_e32 v101, v183, v120
	v_fma_f32 v103, -0.5, v116, v112
	v_dual_add_f32 v116, v215, v205 :: v_dual_fmac_f32 v109, 0x3f5db3d7, v218
	v_fma_f32 v107, -0.5, v213, v196
	v_mul_f32_e32 v208, 0.5, v204
	v_add_f32_e32 v112, v97, v101
	s_delay_alu instid0(VALU_DEP_4) | instskip(SKIP_1) | instid1(VALU_DEP_1)
	v_add_f32_e32 v120, v100, v116
	v_dual_sub_f32 v201, v100, v116 :: v_dual_fmamk_f32 v116, v202, 0x3f5db3d7, v199
	v_dual_fmac_f32 v199, 0xbf5db3d7, v202 :: v_dual_mul_f32 v212, 0.5, v116
	v_add_f32_e32 v219, v110, v114
	v_add_f32_e32 v114, v114, v118
	v_fma_f32 v90, -0.5, v209, v90
	s_delay_alu instid0(VALU_DEP_4) | instskip(SKIP_1) | instid1(VALU_DEP_4)
	v_mul_f32_e32 v211, 0xbf5db3d7, v199
	v_mul_f32_e32 v209, -0.5, v121
	v_dual_mul_f32 v213, -0.5, v199 :: v_dual_fmac_f32 v110, -0.5, v114
	v_add_f32_e32 v114, v220, v206
	v_mul_f32_e32 v206, 0xbf5db3d7, v204
	s_delay_alu instid0(VALU_DEP_3) | instskip(SKIP_1) | instid1(VALU_DEP_1)
	v_fmamk_f32 v99, v113, 0x3f5db3d7, v110
	v_dual_fmac_f32 v110, 0xbf5db3d7, v113 :: v_dual_fmamk_f32 v113, v222, 0xbf5db3d7, v197
	v_dual_fmac_f32 v197, 0x3f5db3d7, v222 :: v_dual_fmac_f32 v212, 0x3f5db3d7, v113
	s_delay_alu instid0(VALU_DEP_1)
	v_fmac_f32_e32 v211, -0.5, v197
	v_add_f32_e32 v183, v216, v117
	v_dual_sub_f32 v117, v92, v94 :: v_dual_fmamk_f32 v92, v210, 0xbf5db3d7, v90
	v_fmac_f32_e32 v90, 0x3f5db3d7, v210
	v_mul_f32_e32 v210, 0xbf5db3d7, v116
	v_fmamk_f32 v122, v115, 0x3f5db3d7, v103
	v_dual_sub_f32 v94, v183, v114 :: v_dual_add_nc_u32 v123, 0x400, v180
	v_dual_add_f32 v100, v183, v114 :: v_dual_fmac_f32 v103, 0xbf5db3d7, v115
	s_delay_alu instid0(VALU_DEP_3) | instskip(SKIP_2) | instid1(VALU_DEP_3)
	v_mul_f32_e32 v183, 0xbf5db3d7, v122
	v_dual_mul_f32 v122, 0.5, v122 :: v_dual_fmamk_f32 v115, v214, 0xbf5db3d7, v107
	v_fmac_f32_e32 v210, 0.5, v113
	v_dual_add_f32 v196, v219, v118 :: v_dual_fmac_f32 v183, 0.5, v93
	s_delay_alu instid0(VALU_DEP_3) | instskip(SKIP_2) | instid1(VALU_DEP_3)
	v_fmac_f32_e32 v122, 0x3f5db3d7, v93
	v_sub_f32_e32 v118, v97, v101
	v_dual_fmac_f32 v208, 0x3f5db3d7, v115 :: v_dual_fmac_f32 v107, 0x3f5db3d7, v214
	v_dual_add_f32 v113, v203, v183 :: v_dual_add_f32 v114, v102, v122
	v_dual_sub_f32 v202, v203, v183 :: v_dual_sub_f32 v203, v102, v122
	v_dual_add_f32 v102, v96, v210 :: v_dual_fmamk_f32 v97, v95, 0x3f5db3d7, v91
	v_fmac_f32_e32 v91, 0xbf5db3d7, v95
	v_fmac_f32_e32 v206, 0.5, v115
	v_fmac_f32_e32 v209, 0x3f5db3d7, v107
	s_delay_alu instid0(VALU_DEP_4) | instskip(SKIP_1) | instid1(VALU_DEP_4)
	v_dual_fmac_f32 v213, 0x3f5db3d7, v197 :: v_dual_add_f32 v122, v97, v208
	v_dual_add_f32 v198, v223, v207 :: v_dual_mul_f32 v207, 0xbf5db3d7, v121
	v_add_f32_e32 v121, v92, v206
	s_delay_alu instid0(VALU_DEP_4) | instskip(SKIP_1) | instid1(VALU_DEP_4)
	v_add_f32_e32 v199, v91, v209
	v_sub_f32_e32 v91, v91, v209
	v_add_f32_e32 v101, v196, v198
	v_dual_sub_f32 v95, v196, v198 :: v_dual_mul_f32 v196, 0xbf5db3d7, v103
	v_mul_f32_e32 v103, -0.5, v103
	v_fmac_f32_e32 v207, -0.5, v107
	v_dual_add_f32 v93, v110, v213 :: v_dual_sub_f32 v96, v96, v210
	s_delay_alu instid0(VALU_DEP_4) | instskip(NEXT) | instid1(VALU_DEP_3)
	v_fmac_f32_e32 v196, -0.5, v98
	v_dual_fmac_f32 v103, 0x3f5db3d7, v98 :: v_dual_add_f32 v198, v90, v207
	v_sub_f32_e32 v90, v90, v207
	s_delay_alu instid0(VALU_DEP_3) | instskip(NEXT) | instid1(VALU_DEP_3)
	v_dual_sub_f32 v98, v109, v211 :: v_dual_add_f32 v115, v88, v196
	v_add_f32_e32 v116, v89, v103
	v_dual_sub_f32 v204, v88, v196 :: v_dual_sub_f32 v205, v89, v103
	v_dual_sub_f32 v88, v92, v206 :: v_dual_sub_f32 v89, v97, v208
	v_dual_add_f32 v92, v109, v211 :: v_dual_add_f32 v103, v99, v212
	v_sub_f32_e32 v97, v99, v212
	v_sub_f32_e32 v99, v110, v213
	ds_store_b128 v106, v[111:114]
	ds_store_b128 v106, v[115:118] offset:16
	ds_store_b128 v106, v[202:205] offset:32
	ds_store_b128 v105, v[119:122]
	ds_store_b128 v105, v[198:201] offset:16
	ds_store_b128 v105, v[88:91] offset:32
	;; [unrolled: 3-line block ×3, first 2 shown]
	global_wb scope:SCOPE_SE
	s_wait_dscnt 0x0
	s_barrier_signal -1
	s_barrier_wait -1
	global_inv scope:SCOPE_SE
	ds_load_2addr_b64 v[104:107], v180 offset1:108
	ds_load_2addr_b64 v[120:123], v123 offset0:88 offset1:196
	ds_load_2addr_b64 v[116:119], v194 offset0:48 offset1:156
	;; [unrolled: 1-line block ×4, first 2 shown]
	ds_load_b64 v[88:89], v180 offset:8640
	s_and_saveexec_b32 s2, vcc_lo
	s_cbranch_execz .LBB0_7
; %bb.6:
	ds_load_2addr_b64 v[90:93], v194 offset0:114 offset1:222
	ds_load_2addr_b64 v[98:101], v52 offset0:26 offset1:134
	s_wait_dscnt 0x1
	v_dual_mov_b32 v97, v93 :: v_dual_add_nc_u32 v48, 0x1400, v180
	ds_load_2addr_b64 v[196:199], v180 offset0:66 offset1:174
	ds_load_2addr_b64 v[52:55], v48 offset0:74 offset1:182
	v_dual_mov_b32 v95, v91 :: v_dual_add_nc_u32 v48, 0x1c00, v180
	ds_load_b64 v[177:178], v180 offset:9168
	ds_load_2addr_b64 v[48:51], v48 offset0:34 offset1:142
	s_wait_dscnt 0x4
	v_dual_mov_b32 v96, v92 :: v_dual_mov_b32 v93, v101
	v_dual_mov_b32 v94, v90 :: v_dual_mov_b32 v103, v99
	v_mov_b32_e32 v92, v100
	v_mov_b32_e32 v102, v98
	s_wait_dscnt 0x3
	v_dual_mov_b32 v100, v198 :: v_dual_mov_b32 v91, v197
	v_dual_mov_b32 v101, v199 :: v_dual_mov_b32 v90, v196
	s_wait_dscnt 0x2
	v_dual_mov_b32 v98, v52 :: v_dual_mov_b32 v99, v53
.LBB0_7:
	s_wait_alu 0xfffe
	s_or_b32 exec_lo, exec_lo, s2
	s_wait_dscnt 0x4
	v_dual_mul_f32 v197, v39, v121 :: v_dual_add_nc_u32 v194, 0x420, v195
	v_mul_f32_e32 v183, v37, v107
	v_mul_f32_e32 v39, v39, v120
	v_dual_mul_f32 v196, v37, v106 :: v_dual_add_nc_u32 v53, 0x630, v195
	s_delay_alu instid0(VALU_DEP_3) | instskip(SKIP_1) | instid1(VALU_DEP_4)
	v_dual_fmac_f32 v183, v36, v106 :: v_dual_add_nc_u32 v52, 0x840, v195
	v_dual_fmac_f32 v197, v38, v120 :: v_dual_mul_f32 v106, v33, v123
	v_fma_f32 v38, v38, v121, -v39
	s_wait_dscnt 0x3
	v_mul_f32_e32 v39, v35, v117
	v_fma_f32 v36, v36, v107, -v196
	v_dual_fmac_f32 v106, v32, v122 :: v_dual_add_nc_u32 v37, 0xa50, v195
	global_wb scope:SCOPE_SE
	s_wait_dscnt 0x0
	v_fmac_f32_e32 v39, v34, v116
	v_mul_f32_e32 v33, v33, v122
	s_barrier_signal -1
	s_barrier_wait -1
	global_inv scope:SCOPE_SE
	v_fma_f32 v32, v32, v123, -v33
	v_mul_f32_e32 v33, v29, v119
	s_delay_alu instid0(VALU_DEP_1) | instskip(SKIP_2) | instid1(VALU_DEP_2)
	v_fmac_f32_e32 v33, v28, v118
	v_mul_f32_e32 v35, v35, v116
	v_add_f32_e32 v116, v105, v36
	v_fma_f32 v34, v34, v117, -v35
	v_mul_f32_e32 v35, v31, v113
	s_delay_alu instid0(VALU_DEP_1) | instskip(SKIP_1) | instid1(VALU_DEP_1)
	v_fmac_f32_e32 v35, v30, v112
	v_mul_f32_e32 v29, v29, v118
	v_fma_f32 v28, v28, v119, -v29
	v_dual_mul_f32 v29, v31, v112 :: v_dual_mul_f32 v112, v25, v115
	v_mul_f32_e32 v25, v25, v114
	s_delay_alu instid0(VALU_DEP_2) | instskip(NEXT) | instid1(VALU_DEP_3)
	v_fma_f32 v29, v30, v113, -v29
	v_fmac_f32_e32 v112, v24, v114
	s_delay_alu instid0(VALU_DEP_3) | instskip(SKIP_2) | instid1(VALU_DEP_2)
	v_fma_f32 v24, v24, v115, -v25
	v_mul_f32_e32 v25, v27, v109
	v_mul_f32_e32 v27, v27, v108
	v_fmac_f32_e32 v25, v26, v108
	s_delay_alu instid0(VALU_DEP_2) | instskip(SKIP_2) | instid1(VALU_DEP_2)
	v_fma_f32 v26, v26, v109, -v27
	v_mul_f32_e32 v27, v23, v88
	v_mul_f32_e32 v23, v23, v89
	v_fma_f32 v27, v22, v89, -v27
	s_delay_alu instid0(VALU_DEP_1) | instskip(SKIP_1) | instid1(VALU_DEP_2)
	v_dual_fmac_f32 v23, v22, v88 :: v_dual_sub_f32 v88, v36, v27
	v_add_f32_e32 v107, v104, v183
	v_mul_f32_e32 v113, 0xbf7d64f0, v88
	s_delay_alu instid0(VALU_DEP_2) | instskip(SKIP_1) | instid1(VALU_DEP_2)
	v_add_f32_e32 v31, v107, v197
	v_dual_add_f32 v107, v116, v38 :: v_dual_mul_f32 v118, 0xbf4178ce, v88
	v_add_f32_e32 v30, v31, v106
	s_delay_alu instid0(VALU_DEP_2) | instskip(SKIP_1) | instid1(VALU_DEP_3)
	v_add_f32_e32 v31, v107, v32
	v_mul_f32_e32 v107, v21, v111
	v_dual_mul_f32 v21, v21, v110 :: v_dual_add_f32 v30, v30, v39
	s_delay_alu instid0(VALU_DEP_2) | instskip(NEXT) | instid1(VALU_DEP_2)
	v_fmac_f32_e32 v107, v20, v110
	v_fma_f32 v22, v20, v111, -v21
	s_delay_alu instid0(VALU_DEP_3) | instskip(NEXT) | instid1(VALU_DEP_2)
	v_add_f32_e32 v30, v30, v33
	v_sub_f32_e32 v123, v38, v22
	s_delay_alu instid0(VALU_DEP_2) | instskip(NEXT) | instid1(VALU_DEP_1)
	v_add_f32_e32 v30, v30, v35
	v_add_f32_e32 v30, v30, v112
	s_delay_alu instid0(VALU_DEP_1) | instskip(SKIP_1) | instid1(VALU_DEP_2)
	v_add_f32_e32 v20, v30, v25
	v_add_f32_e32 v30, v183, v23
	;; [unrolled: 1-line block ×3, first 2 shown]
	s_delay_alu instid0(VALU_DEP_2) | instskip(SKIP_3) | instid1(VALU_DEP_4)
	v_fmamk_f32 v120, v30, 0xbf27a4f4, v118
	v_fma_f32 v118, 0xbf27a4f4, v30, -v118
	v_fmamk_f32 v116, v30, 0xbe11bafb, v113
	v_fma_f32 v113, 0xbe11bafb, v30, -v113
	v_add_f32_e32 v120, v104, v120
	s_delay_alu instid0(VALU_DEP_4) | instskip(SKIP_2) | instid1(VALU_DEP_2)
	v_dual_add_f32 v118, v104, v118 :: v_dual_sub_f32 v89, v183, v23
	v_dual_add_f32 v20, v20, v23 :: v_dual_mul_f32 v23, 0xbf68dda4, v88
	v_add_f32_e32 v116, v104, v116
	v_dual_fmamk_f32 v110, v30, 0x3ed4b147, v23 :: v_dual_add_f32 v31, v31, v34
	v_fma_f32 v23, 0x3ed4b147, v30, -v23
	s_delay_alu instid0(VALU_DEP_2) | instskip(NEXT) | instid1(VALU_DEP_1)
	v_dual_add_f32 v110, v104, v110 :: v_dual_add_f32 v31, v31, v28
	v_add_f32_e32 v31, v31, v29
	s_delay_alu instid0(VALU_DEP_1) | instskip(NEXT) | instid1(VALU_DEP_1)
	v_add_f32_e32 v31, v31, v24
	v_add_f32_e32 v21, v31, v26
	v_dual_add_f32 v31, v36, v27 :: v_dual_mul_f32 v36, 0xbf0a6770, v88
	s_delay_alu instid0(VALU_DEP_2) | instskip(SKIP_1) | instid1(VALU_DEP_3)
	v_dual_mul_f32 v88, 0xbe903f40, v88 :: v_dual_add_f32 v21, v21, v22
	v_add_f32_e32 v22, v38, v22
	v_fmamk_f32 v109, v30, 0x3f575c64, v36
	v_fma_f32 v36, 0x3f575c64, v30, -v36
	s_delay_alu instid0(VALU_DEP_4)
	v_fmamk_f32 v122, v30, 0xbf75a155, v88
	v_fma_f32 v30, 0xbf75a155, v30, -v88
	v_mul_f32_e32 v108, 0x3f575c64, v31
	v_mul_f32_e32 v111, 0x3ed4b147, v31
	;; [unrolled: 1-line block ×4, first 2 shown]
	v_add_f32_e32 v38, v197, v107
	v_mul_f32_e32 v88, 0xbf68dda4, v123
	v_dual_add_f32 v30, v104, v30 :: v_dual_mul_f32 v31, 0xbf75a155, v31
	v_add_f32_e32 v36, v104, v36
	s_delay_alu instid0(VALU_DEP_3) | instskip(SKIP_1) | instid1(VALU_DEP_4)
	v_dual_add_f32 v122, v104, v122 :: v_dual_fmamk_f32 v195, v38, 0x3ed4b147, v88
	v_fma_f32 v88, 0x3ed4b147, v38, -v88
	v_fmamk_f32 v183, v89, 0x3e903f40, v31
	v_add_f32_e32 v21, v21, v27
	v_fmamk_f32 v27, v89, 0x3f0a6770, v108
	v_fmac_f32_e32 v108, 0xbf0a6770, v89
	v_add_f32_e32 v36, v88, v36
	v_fmamk_f32 v114, v89, 0x3f68dda4, v111
	v_fmac_f32_e32 v111, 0xbf68dda4, v89
	v_fmamk_f32 v117, v89, 0x3f7d64f0, v115
	v_fmac_f32_e32 v115, 0xbf7d64f0, v89
	;; [unrolled: 2-line block ×3, first 2 shown]
	v_add_f32_e32 v183, v105, v183
	v_fmac_f32_e32 v119, 0xbf4178ce, v89
	v_sub_f32_e32 v89, v197, v107
	v_mul_f32_e32 v107, 0x3ed4b147, v22
	v_dual_add_f32 v109, v104, v109 :: v_dual_add_f32 v108, v105, v108
	v_add_f32_e32 v23, v104, v23
	s_delay_alu instid0(VALU_DEP_3) | instskip(NEXT) | instid1(VALU_DEP_3)
	v_dual_add_f32 v113, v104, v113 :: v_dual_fmamk_f32 v104, v89, 0x3f68dda4, v107
	v_add_f32_e32 v109, v195, v109
	v_fmac_f32_e32 v107, 0xbf68dda4, v89
	v_mul_f32_e32 v195, 0xbf27a4f4, v22
	v_add_f32_e32 v27, v105, v27
	v_add_f32_e32 v114, v105, v114
	s_delay_alu instid0(VALU_DEP_4) | instskip(NEXT) | instid1(VALU_DEP_4)
	v_dual_add_f32 v121, v105, v121 :: v_dual_add_f32 v88, v107, v108
	v_fmamk_f32 v108, v89, 0x3f4178ce, v195
	v_add_f32_e32 v119, v105, v119
	v_add_f32_e32 v31, v105, v31
	v_mul_f32_e32 v107, 0x3e903f40, v123
	v_dual_add_f32 v111, v105, v111 :: v_dual_mul_f32 v196, 0xbf75a155, v22
	v_dual_add_f32 v115, v105, v115 :: v_dual_add_f32 v108, v108, v114
	v_dual_mul_f32 v114, 0x3f7d64f0, v123 :: v_dual_add_f32 v117, v105, v117
	v_mul_f32_e32 v105, 0xbf4178ce, v123
	v_add_f32_e32 v27, v104, v27
	v_fmac_f32_e32 v195, 0xbf4178ce, v89
	v_mul_f32_e32 v123, 0x3f0a6770, v123
	s_delay_alu instid0(VALU_DEP_4) | instskip(SKIP_1) | instid1(VALU_DEP_2)
	v_fmamk_f32 v104, v38, 0xbf27a4f4, v105
	v_fma_f32 v105, 0xbf27a4f4, v38, -v105
	v_add_f32_e32 v104, v104, v110
	s_delay_alu instid0(VALU_DEP_2) | instskip(SKIP_3) | instid1(VALU_DEP_4)
	v_dual_fmamk_f32 v110, v38, 0xbf75a155, v107 :: v_dual_add_f32 v23, v105, v23
	v_add_f32_e32 v105, v195, v111
	v_fmamk_f32 v111, v89, 0xbe903f40, v196
	v_fma_f32 v107, 0xbf75a155, v38, -v107
	v_add_f32_e32 v110, v110, v116
	v_mul_f32_e32 v116, 0xbe11bafb, v22
	s_delay_alu instid0(VALU_DEP_4) | instskip(SKIP_2) | instid1(VALU_DEP_1)
	v_dual_mul_f32 v22, 0x3f575c64, v22 :: v_dual_add_f32 v111, v111, v117
	v_fmamk_f32 v117, v38, 0xbe11bafb, v114
	v_fma_f32 v114, 0xbe11bafb, v38, -v114
	v_add_f32_e32 v114, v114, v118
	v_sub_f32_e32 v118, v32, v26
	s_delay_alu instid0(VALU_DEP_4) | instskip(SKIP_4) | instid1(VALU_DEP_2)
	v_dual_add_f32 v26, v32, v26 :: v_dual_add_f32 v117, v117, v120
	v_dual_fmamk_f32 v120, v38, 0x3f575c64, v123 :: v_dual_add_f32 v107, v107, v113
	v_fmamk_f32 v113, v89, 0xbf7d64f0, v116
	v_fmac_f32_e32 v116, 0x3f7d64f0, v89
	v_fma_f32 v32, 0x3f575c64, v38, -v123
	v_dual_add_f32 v113, v113, v121 :: v_dual_add_f32 v116, v116, v119
	v_add_f32_e32 v121, v106, v25
	v_add_f32_e32 v119, v120, v122
	v_mul_f32_e32 v122, 0xbf7d64f0, v118
	v_fmac_f32_e32 v196, 0x3e903f40, v89
	v_fmamk_f32 v120, v89, 0xbf0a6770, v22
	v_fmac_f32_e32 v22, 0x3f0a6770, v89
	s_delay_alu instid0(VALU_DEP_4) | instskip(NEXT) | instid1(VALU_DEP_3)
	v_dual_sub_f32 v25, v106, v25 :: v_dual_fmamk_f32 v38, v121, 0xbe11bafb, v122
	v_dual_mul_f32 v89, 0xbe11bafb, v26 :: v_dual_add_f32 v106, v120, v183
	v_add_f32_e32 v30, v32, v30
	s_delay_alu instid0(VALU_DEP_4) | instskip(NEXT) | instid1(VALU_DEP_3)
	v_add_f32_e32 v22, v22, v31
	v_dual_add_f32 v31, v38, v109 :: v_dual_fmamk_f32 v32, v25, 0x3f7d64f0, v89
	v_mul_f32_e32 v38, 0x3e903f40, v118
	v_fma_f32 v109, 0xbe11bafb, v121, -v122
	v_fmac_f32_e32 v89, 0xbf7d64f0, v25
	v_mul_f32_e32 v120, 0xbf75a155, v26
	v_dual_mul_f32 v122, 0x3f575c64, v26 :: v_dual_add_f32 v27, v32, v27
	v_fmamk_f32 v32, v121, 0xbf75a155, v38
	v_add_f32_e32 v36, v109, v36
	v_add_f32_e32 v88, v89, v88
	v_fmamk_f32 v89, v25, 0xbe903f40, v120
	v_mul_f32_e32 v109, 0x3f68dda4, v118
	v_fma_f32 v38, 0xbf75a155, v121, -v38
	v_fmac_f32_e32 v120, 0x3e903f40, v25
	v_add_f32_e32 v32, v32, v104
	v_add_f32_e32 v89, v89, v108
	v_fmamk_f32 v104, v121, 0x3ed4b147, v109
	v_dual_mul_f32 v108, 0x3ed4b147, v26 :: v_dual_add_f32 v23, v38, v23
	v_dual_add_f32 v38, v120, v105 :: v_dual_mul_f32 v105, 0xbf0a6770, v118
	s_delay_alu instid0(VALU_DEP_3) | instskip(NEXT) | instid1(VALU_DEP_3)
	v_add_f32_e32 v104, v104, v110
	v_fmamk_f32 v110, v25, 0xbf68dda4, v108
	v_fma_f32 v109, 0x3ed4b147, v121, -v109
	v_mul_f32_e32 v26, 0xbf27a4f4, v26
	v_fmamk_f32 v120, v121, 0x3f575c64, v105
	s_delay_alu instid0(VALU_DEP_4) | instskip(NEXT) | instid1(VALU_DEP_4)
	v_add_f32_e32 v110, v110, v111
	v_add_f32_e32 v107, v109, v107
	v_fmamk_f32 v111, v25, 0x3f0a6770, v122
	s_delay_alu instid0(VALU_DEP_4) | instskip(SKIP_2) | instid1(VALU_DEP_2)
	v_add_f32_e32 v109, v120, v117
	v_fmamk_f32 v117, v25, 0x3f4178ce, v26
	v_fmac_f32_e32 v122, 0xbf0a6770, v25
	v_add_f32_e32 v106, v117, v106
	v_fma_f32 v105, 0x3f575c64, v121, -v105
	s_delay_alu instid0(VALU_DEP_1) | instskip(SKIP_2) | instid1(VALU_DEP_2)
	v_dual_add_f32 v105, v105, v114 :: v_dual_add_f32 v114, v122, v116
	v_sub_f32_e32 v116, v34, v24
	v_add_f32_e32 v24, v34, v24
	v_dual_mul_f32 v34, 0xbf4178ce, v116 :: v_dual_add_f32 v115, v196, v115
	v_fmac_f32_e32 v108, 0x3f68dda4, v25
	v_dual_fmac_f32 v26, 0xbf4178ce, v25 :: v_dual_sub_f32 v25, v39, v112
	v_add_f32_e32 v111, v111, v113
	s_delay_alu instid0(VALU_DEP_3) | instskip(SKIP_1) | instid1(VALU_DEP_4)
	v_dual_add_f32 v117, v39, v112 :: v_dual_add_f32 v108, v108, v115
	v_mul_f32_e32 v115, 0xbf4178ce, v118
	v_dual_mul_f32 v39, 0xbf27a4f4, v24 :: v_dual_add_f32 v22, v26, v22
	s_delay_alu instid0(VALU_DEP_3) | instskip(SKIP_1) | instid1(VALU_DEP_4)
	v_fmamk_f32 v112, v117, 0xbf27a4f4, v34
	v_mul_f32_e32 v26, 0x3f7d64f0, v116
	v_fmamk_f32 v113, v121, 0xbf27a4f4, v115
	v_fma_f32 v115, 0xbf27a4f4, v121, -v115
	v_fma_f32 v34, 0xbf27a4f4, v117, -v34
	s_delay_alu instid0(VALU_DEP_4) | instskip(SKIP_1) | instid1(VALU_DEP_4)
	v_dual_add_f32 v31, v112, v31 :: v_dual_fmamk_f32 v112, v117, 0xbe11bafb, v26
	v_fma_f32 v26, 0xbe11bafb, v117, -v26
	v_dual_add_f32 v30, v115, v30 :: v_dual_fmamk_f32 v115, v25, 0x3f4178ce, v39
	s_delay_alu instid0(VALU_DEP_4) | instskip(NEXT) | instid1(VALU_DEP_4)
	v_dual_fmac_f32 v39, 0xbf4178ce, v25 :: v_dual_add_f32 v34, v34, v36
	v_add_f32_e32 v32, v112, v32
	s_delay_alu instid0(VALU_DEP_3) | instskip(SKIP_1) | instid1(VALU_DEP_4)
	v_dual_mul_f32 v112, 0x3f575c64, v24 :: v_dual_add_f32 v27, v115, v27
	v_mul_f32_e32 v115, 0xbe11bafb, v24
	v_add_f32_e32 v36, v39, v88
	v_mul_f32_e32 v39, 0xbf0a6770, v116
	s_delay_alu instid0(VALU_DEP_1) | instskip(NEXT) | instid1(VALU_DEP_4)
	v_fmamk_f32 v118, v117, 0x3f575c64, v39
	v_fmamk_f32 v88, v25, 0xbf7d64f0, v115
	v_fmac_f32_e32 v115, 0x3f7d64f0, v25
	v_fma_f32 v39, 0x3f575c64, v117, -v39
	s_delay_alu instid0(VALU_DEP_4) | instskip(NEXT) | instid1(VALU_DEP_4)
	v_add_f32_e32 v104, v118, v104
	v_dual_add_f32 v88, v88, v89 :: v_dual_add_f32 v89, v26, v23
	s_delay_alu instid0(VALU_DEP_4) | instskip(SKIP_2) | instid1(VALU_DEP_3)
	v_dual_fmamk_f32 v23, v25, 0x3f0a6770, v112 :: v_dual_add_f32 v38, v115, v38
	v_dual_add_f32 v113, v113, v119 :: v_dual_fmac_f32 v112, 0xbf0a6770, v25
	v_mul_f32_e32 v26, 0xbe903f40, v116
	v_dual_add_f32 v110, v23, v110 :: v_dual_mul_f32 v23, 0xbf75a155, v24
	v_dual_mul_f32 v24, 0x3ed4b147, v24 :: v_dual_add_f32 v39, v39, v107
	s_delay_alu instid0(VALU_DEP_4) | instskip(SKIP_1) | instid1(VALU_DEP_4)
	v_add_f32_e32 v107, v112, v108
	v_mul_f32_e32 v108, 0x3f68dda4, v116
	v_fmamk_f32 v112, v25, 0x3e903f40, v23
	v_fmamk_f32 v115, v117, 0xbf75a155, v26
	v_fma_f32 v26, 0xbf75a155, v117, -v26
	v_dual_fmac_f32 v23, 0xbe903f40, v25 :: v_dual_sub_f32 v116, v33, v35
	s_delay_alu instid0(VALU_DEP_3) | instskip(SKIP_1) | instid1(VALU_DEP_4)
	v_add_f32_e32 v109, v115, v109
	v_fmamk_f32 v115, v117, 0x3ed4b147, v108
	v_add_f32_e32 v105, v26, v105
	v_fma_f32 v26, 0x3ed4b147, v117, -v108
	v_add_f32_e32 v108, v28, v29
	v_dual_add_f32 v111, v112, v111 :: v_dual_add_f32 v112, v23, v114
	v_sub_f32_e32 v114, v28, v29
	v_add_f32_e32 v113, v115, v113
	v_fmamk_f32 v23, v25, 0xbf68dda4, v24
	v_dual_add_f32 v115, v33, v35 :: v_dual_fmac_f32 v24, 0x3f68dda4, v25
	s_delay_alu instid0(VALU_DEP_4) | instskip(NEXT) | instid1(VALU_DEP_3)
	v_mul_f32_e32 v28, 0xbe903f40, v114
	v_dual_mul_f32 v25, 0xbf75a155, v108 :: v_dual_add_f32 v106, v23, v106
	v_add_f32_e32 v117, v26, v30
	s_delay_alu instid0(VALU_DEP_3) | instskip(NEXT) | instid1(VALU_DEP_3)
	v_dual_add_f32 v118, v24, v22 :: v_dual_fmamk_f32 v23, v115, 0xbf75a155, v28
	v_fmamk_f32 v24, v116, 0x3e903f40, v25
	v_mul_f32_e32 v29, 0x3f0a6770, v114
	v_fma_f32 v26, 0xbf75a155, v115, -v28
	v_mul_f32_e32 v30, 0x3f575c64, v108
	v_add_f32_e32 v22, v23, v31
	v_add_f32_e32 v23, v24, v27
	v_mul_f32_e32 v31, 0xbf4178ce, v114
	v_add_f32_e32 v24, v26, v34
	v_mul_f32_e32 v34, 0x3f68dda4, v114
	v_fmamk_f32 v27, v115, 0x3f575c64, v29
	v_mul_f32_e32 v33, 0xbf27a4f4, v108
	v_fma_f32 v28, 0x3f575c64, v115, -v29
	v_fma_f32 v35, 0xbf27a4f4, v115, -v31
	s_delay_alu instid0(VALU_DEP_4) | instskip(SKIP_2) | instid1(VALU_DEP_3)
	v_dual_add_f32 v26, v27, v32 :: v_dual_fmamk_f32 v27, v116, 0xbf0a6770, v30
	v_fmac_f32_e32 v30, 0x3f0a6770, v116
	v_fmamk_f32 v32, v115, 0xbf27a4f4, v31
	v_dual_add_f32 v28, v28, v89 :: v_dual_add_f32 v27, v27, v88
	v_mul_f32_e32 v88, 0xbf7d64f0, v114
	s_delay_alu instid0(VALU_DEP_3) | instskip(SKIP_4) | instid1(VALU_DEP_4)
	v_dual_add_f32 v29, v30, v38 :: v_dual_add_f32 v30, v32, v104
	v_fmamk_f32 v32, v116, 0x3f4178ce, v33
	v_fmamk_f32 v38, v115, 0x3ed4b147, v34
	v_fmac_f32_e32 v33, 0xbf4178ce, v116
	v_fmamk_f32 v89, v115, 0xbe11bafb, v88
	v_dual_add_f32 v31, v32, v110 :: v_dual_add_f32 v32, v35, v39
	v_fma_f32 v39, 0x3ed4b147, v115, -v34
	s_delay_alu instid0(VALU_DEP_4) | instskip(NEXT) | instid1(VALU_DEP_2)
	v_dual_add_f32 v34, v38, v109 :: v_dual_add_f32 v33, v33, v107
	v_dual_mul_f32 v107, 0xbe11bafb, v108 :: v_dual_add_f32 v38, v39, v105
	v_fma_f32 v105, 0xbe11bafb, v115, -v88
	v_fmac_f32_e32 v25, 0xbe903f40, v116
	s_delay_alu instid0(VALU_DEP_3) | instskip(SKIP_1) | instid1(VALU_DEP_3)
	v_fmamk_f32 v104, v116, 0x3f7d64f0, v107
	v_dual_fmac_f32 v107, 0xbf7d64f0, v116 :: v_dual_add_f32 v88, v89, v113
	v_add_f32_e32 v25, v25, v36
	s_delay_alu instid0(VALU_DEP_3) | instskip(NEXT) | instid1(VALU_DEP_3)
	v_dual_mul_f32 v36, 0x3ed4b147, v108 :: v_dual_add_f32 v89, v104, v106
	v_dual_add_f32 v104, v105, v117 :: v_dual_add_f32 v105, v107, v118
	s_delay_alu instid0(VALU_DEP_2) | instskip(NEXT) | instid1(VALU_DEP_1)
	v_fmamk_f32 v35, v116, 0xbf68dda4, v36
	v_dual_fmac_f32 v36, 0x3f68dda4, v116 :: v_dual_add_f32 v35, v35, v111
	s_delay_alu instid0(VALU_DEP_1)
	v_add_f32_e32 v39, v36, v112
	ds_store_2addr_b64 v193, v[20:21], v[22:23] offset1:6
	ds_store_2addr_b64 v193, v[26:27], v[30:31] offset0:12 offset1:18
	ds_store_2addr_b64 v193, v[34:35], v[88:89] offset0:24 offset1:30
	;; [unrolled: 1-line block ×4, first 2 shown]
	ds_store_b64 v193, v[24:25] offset:480
	s_and_saveexec_b32 s2, vcc_lo
	s_cbranch_execz .LBB0_9
; %bb.8:
	v_dual_mul_f32 v20, v19, v177 :: v_dual_mul_f32 v21, v13, v100
	v_dual_mul_f32 v31, v11, v94 :: v_dual_mul_f32 v28, v9, v92
	v_mul_f32_e32 v30, v7, v49
	s_delay_alu instid0(VALU_DEP_3) | instskip(NEXT) | instid1(VALU_DEP_4)
	v_fma_f32 v20, v18, v178, -v20
	v_fma_f32 v21, v12, v101, -v21
	v_mul_f32_e32 v19, v19, v178
	v_fma_f32 v31, v10, v95, -v31
	v_mul_f32_e32 v27, v7, v48
	v_fma_f32 v28, v8, v93, -v28
	v_dual_mul_f32 v9, v9, v93 :: v_dual_fmac_f32 v30, v6, v48
	v_fmac_f32_e32 v19, v18, v177
	v_add_f32_e32 v18, v20, v21
	v_mul_f32_e32 v13, v13, v101
	v_fma_f32 v27, v6, v49, -v27
	v_sub_f32_e32 v38, v21, v20
	s_delay_alu instid0(VALU_DEP_4) | instskip(NEXT) | instid1(VALU_DEP_4)
	v_dual_mul_f32 v33, v5, v55 :: v_dual_mul_f32 v24, 0xbf75a155, v18
	v_dual_mul_f32 v22, v17, v50 :: v_dual_fmac_f32 v13, v12, v100
	s_delay_alu instid0(VALU_DEP_4) | instskip(SKIP_1) | instid1(VALU_DEP_3)
	v_dual_add_f32 v32, v27, v28 :: v_dual_mul_f32 v7, v5, v54
	v_mul_f32_e32 v48, v3, v99
	v_fma_f32 v22, v16, v51, -v22
	s_delay_alu instid0(VALU_DEP_4) | instskip(SKIP_4) | instid1(VALU_DEP_4)
	v_sub_f32_e32 v25, v13, v19
	v_mul_f32_e32 v23, v15, v102
	v_dual_mul_f32 v15, v15, v103 :: v_dual_mul_f32 v34, 0xbf27a4f4, v32
	v_mul_f32_e32 v104, 0x3f575c64, v32
	v_mul_f32_e32 v115, 0xbf7d64f0, v38
	v_fma_f32 v23, v14, v103, -v23
	s_delay_alu instid0(VALU_DEP_4) | instskip(SKIP_2) | instid1(VALU_DEP_3)
	v_dual_fmac_f32 v15, v14, v102 :: v_dual_fmamk_f32 v14, v25, 0x3e903f40, v24
	v_dual_mul_f32 v17, v17, v51 :: v_dual_fmac_f32 v48, v2, v98
	v_dual_add_f32 v21, v21, v91 :: v_dual_mul_f32 v110, 0xbe11bafb, v18
	v_add_f32_e32 v14, v91, v14
	s_delay_alu instid0(VALU_DEP_3) | instskip(SKIP_3) | instid1(VALU_DEP_4)
	v_dual_add_f32 v26, v22, v23 :: v_dual_fmac_f32 v17, v16, v50
	v_mul_f32_e32 v50, 0xbe903f40, v38
	v_fmac_f32_e32 v33, v4, v54
	v_sub_f32_e32 v54, v23, v22
	v_mul_f32_e32 v16, 0x3f575c64, v26
	v_sub_f32_e32 v12, v15, v17
	v_mul_f32_e32 v39, v1, v97
	s_delay_alu instid0(VALU_DEP_4) | instskip(SKIP_1) | instid1(VALU_DEP_4)
	v_dual_add_f32 v49, v19, v13 :: v_dual_mul_f32 v88, 0x3f0a6770, v54
	v_mul_f32_e32 v107, 0x3f7d64f0, v54
	v_fmamk_f32 v29, v12, 0xbf0a6770, v16
	v_fmac_f32_e32 v9, v8, v92
	v_fma_f32 v8, v4, v55, -v7
	v_dual_mul_f32 v7, v3, v98 :: v_dual_sub_f32 v92, v28, v27
	s_delay_alu instid0(VALU_DEP_4) | instskip(NEXT) | instid1(VALU_DEP_3)
	v_add_f32_e32 v4, v29, v14
	v_dual_sub_f32 v35, v9, v30 :: v_dual_add_f32 v6, v8, v31
	v_mul_f32_e32 v11, v11, v95
	s_delay_alu instid0(VALU_DEP_4) | instskip(SKIP_1) | instid1(VALU_DEP_4)
	v_fma_f32 v36, v2, v99, -v7
	v_fmac_f32_e32 v39, v0, v96
	v_fmamk_f32 v5, v35, 0x3f4178ce, v34
	v_mul_f32_e32 v14, 0x3ed4b147, v6
	v_dual_fmac_f32 v11, v10, v94 :: v_dual_mul_f32 v10, v1, v96
	v_dual_add_f32 v55, v17, v15 :: v_dual_sub_f32 v96, v31, v8
	s_delay_alu instid0(VALU_DEP_2) | instskip(NEXT) | instid1(VALU_DEP_3)
	v_dual_add_f32 v4, v5, v4 :: v_dual_sub_f32 v29, v11, v33
	v_fma_f32 v10, v0, v97, -v10
	v_fmamk_f32 v0, v49, 0xbf75a155, v50
	s_delay_alu instid0(VALU_DEP_4) | instskip(NEXT) | instid1(VALU_DEP_4)
	v_dual_fmamk_f32 v1, v55, 0x3f575c64, v88 :: v_dual_add_f32 v94, v30, v9
	v_fmamk_f32 v5, v29, 0xbf68dda4, v14
	s_delay_alu instid0(VALU_DEP_3) | instskip(SKIP_2) | instid1(VALU_DEP_3)
	v_dual_add_f32 v51, v36, v10 :: v_dual_add_f32 v0, v90, v0
	v_sub_f32_e32 v100, v10, v36
	v_dual_mul_f32 v95, 0xbf4178ce, v92 :: v_dual_add_f32 v102, v48, v39
	v_dual_add_f32 v4, v5, v4 :: v_dual_mul_f32 v89, 0xbe11bafb, v51
	s_delay_alu instid0(VALU_DEP_4) | instskip(SKIP_4) | instid1(VALU_DEP_4)
	v_add_f32_e32 v0, v1, v0
	v_dual_sub_f32 v93, v39, v48 :: v_dual_add_f32 v98, v33, v11
	v_mul_f32_e32 v97, 0xbf27a4f4, v18
	v_mul_f32_e32 v201, 0x3f7d64f0, v96
	v_fmamk_f32 v5, v55, 0xbe11bafb, v107
	v_fmamk_f32 v2, v93, 0x3f7d64f0, v89
	v_mul_f32_e32 v109, 0xbf0a6770, v92
	v_mul_f32_e32 v113, 0x3f68dda4, v100
	v_dual_fmamk_f32 v202, v98, 0xbe11bafb, v201 :: v_dual_add_f32 v21, v23, v21
	s_delay_alu instid0(VALU_DEP_4)
	v_dual_add_f32 v1, v2, v4 :: v_dual_fmamk_f32 v2, v25, 0x3f4178ce, v97
	v_fmamk_f32 v3, v94, 0xbf27a4f4, v95
	v_mul_f32_e32 v183, 0xbf75a155, v32
	v_mul_f32_e32 v111, 0xbe903f40, v96
	;; [unrolled: 1-line block ×3, first 2 shown]
	v_add_f32_e32 v2, v91, v2
	v_dual_add_f32 v0, v3, v0 :: v_dual_mul_f32 v101, 0xbe11bafb, v26
	v_mul_f32_e32 v103, 0xbf7d64f0, v100
	v_fmamk_f32 v7, v94, 0x3f575c64, v109
	v_mul_f32_e32 v114, 0x3ed4b147, v32
	v_mul_f32_e32 v118, 0x3e903f40, v54
	v_fmamk_f32 v4, v12, 0xbf7d64f0, v101
	v_mul_f32_e32 v99, 0x3f68dda4, v96
	v_mul_f32_e32 v112, 0xbf75a155, v26
	v_fmamk_f32 v116, v35, 0xbf68dda4, v114
	s_delay_alu instid0(VALU_DEP_4)
	v_dual_fmamk_f32 v119, v55, 0xbf75a155, v118 :: v_dual_add_f32 v2, v4, v2
	v_fmamk_f32 v4, v35, 0x3f0a6770, v104
	v_fmamk_f32 v3, v98, 0x3ed4b147, v99
	v_mul_f32_e32 v177, 0xbf4178ce, v100
	v_mul_f32_e32 v122, 0xbf0a6770, v96
	;; [unrolled: 1-line block ×3, first 2 shown]
	v_add_f32_e32 v2, v4, v2
	v_fmamk_f32 v4, v29, 0x3e903f40, v106
	v_dual_add_f32 v0, v3, v0 :: v_dual_fmamk_f32 v3, v102, 0xbe11bafb, v103
	v_fmamk_f32 v193, v102, 0xbf27a4f4, v177
	v_mul_f32_e32 v198, 0x3e903f40, v92
	s_delay_alu instid0(VALU_DEP_4) | instskip(NEXT) | instid1(VALU_DEP_4)
	v_add_f32_e32 v2, v4, v2
	v_dual_mul_f32 v105, 0xbf4178ce, v38 :: v_dual_add_f32 v0, v3, v0
	v_mul_f32_e32 v108, 0x3ed4b147, v51
	v_mul_f32_e32 v32, 0xbe11bafb, v32
	;; [unrolled: 1-line block ×3, first 2 shown]
	s_delay_alu instid0(VALU_DEP_4) | instskip(NEXT) | instid1(VALU_DEP_4)
	v_fmamk_f32 v3, v49, 0xbf27a4f4, v105
	v_dual_add_f32 v13, v90, v13 :: v_dual_fmamk_f32 v4, v93, 0xbf68dda4, v108
	v_fmac_f32_e32 v101, 0x3f7d64f0, v12
	v_mul_f32_e32 v123, 0xbf27a4f4, v26
	s_delay_alu instid0(VALU_DEP_4) | instskip(SKIP_3) | instid1(VALU_DEP_4)
	v_add_f32_e32 v3, v90, v3
	v_mul_f32_e32 v195, 0xbe11bafb, v6
	v_fmac_f32_e32 v16, 0x3f0a6770, v12
	v_fmac_f32_e32 v24, 0xbe903f40, v25
	v_dual_fmamk_f32 v178, v12, 0x3f4178ce, v123 :: v_dual_add_f32 v5, v5, v3
	v_dual_add_f32 v3, v4, v2 :: v_dual_fmamk_f32 v2, v25, 0x3f7d64f0, v110
	v_fmac_f32_e32 v123, 0xbf4178ce, v12
	v_fmac_f32_e32 v14, 0x3f68dda4, v29
	s_delay_alu instid0(VALU_DEP_4) | instskip(NEXT) | instid1(VALU_DEP_4)
	v_dual_add_f32 v4, v7, v5 :: v_dual_fmamk_f32 v5, v98, 0xbf75a155, v111
	v_add_f32_e32 v2, v91, v2
	v_fmac_f32_e32 v104, 0xbf0a6770, v35
	v_fmac_f32_e32 v34, 0xbf4178ce, v35
	;; [unrolled: 1-line block ×3, first 2 shown]
	v_dual_add_f32 v4, v5, v4 :: v_dual_fmamk_f32 v5, v102, 0x3ed4b147, v113
	v_fmamk_f32 v7, v12, 0xbe903f40, v112
	v_fmac_f32_e32 v108, 0x3f68dda4, v93
	v_fmac_f32_e32 v110, 0xbf7d64f0, v25
	;; [unrolled: 1-line block ×3, first 2 shown]
	s_delay_alu instid0(VALU_DEP_4) | instskip(SKIP_2) | instid1(VALU_DEP_1)
	v_dual_fmac_f32 v114, 0x3f68dda4, v35 :: v_dual_add_f32 v7, v7, v2
	v_add_f32_e32 v2, v5, v4
	v_fmamk_f32 v4, v49, 0xbe11bafb, v115
	v_dual_add_f32 v4, v90, v4 :: v_dual_mul_f32 v117, 0x3f575c64, v6
	s_delay_alu instid0(VALU_DEP_1) | instskip(SKIP_1) | instid1(VALU_DEP_1)
	v_dual_add_f32 v4, v119, v4 :: v_dual_mul_f32 v121, 0x3ed4b147, v18
	v_mul_f32_e32 v120, 0x3f68dda4, v92
	v_fmamk_f32 v119, v94, 0x3ed4b147, v120
	s_delay_alu instid0(VALU_DEP_1) | instskip(NEXT) | instid1(VALU_DEP_1)
	v_dual_add_f32 v4, v119, v4 :: v_dual_fmamk_f32 v119, v98, 0x3f575c64, v122
	v_dual_add_f32 v4, v119, v4 :: v_dual_mul_f32 v119, 0xbf68dda4, v38
	v_add_f32_e32 v5, v116, v7
	v_fmamk_f32 v7, v29, 0x3f0a6770, v117
	v_mul_f32_e32 v116, 0xbf27a4f4, v51
	s_delay_alu instid0(VALU_DEP_4) | instskip(SKIP_1) | instid1(VALU_DEP_4)
	v_add_f32_e32 v4, v193, v4
	v_dual_mul_f32 v38, 0xbf0a6770, v38 :: v_dual_add_f32 v13, v15, v13
	v_add_f32_e32 v5, v7, v5
	s_delay_alu instid0(VALU_DEP_4) | instskip(SKIP_1) | instid1(VALU_DEP_4)
	v_fmamk_f32 v7, v93, 0x3f4178ce, v116
	v_dual_add_f32 v15, v28, v21 :: v_dual_mul_f32 v28, 0xbf75a155, v51
	v_add_f32_e32 v9, v9, v13
	v_fmac_f32_e32 v116, 0xbf4178ce, v93
	s_delay_alu instid0(VALU_DEP_4)
	v_add_f32_e32 v5, v7, v5
	v_fmamk_f32 v7, v25, 0x3f68dda4, v121
	v_add_f32_e32 v13, v31, v15
	v_fmamk_f32 v21, v49, 0x3f575c64, v38
	v_add_f32_e32 v9, v11, v9
	v_mul_f32_e32 v31, 0xbf7d64f0, v92
	s_delay_alu instid0(VALU_DEP_4) | instskip(SKIP_3) | instid1(VALU_DEP_4)
	v_dual_add_f32 v7, v91, v7 :: v_dual_add_f32 v10, v10, v13
	v_fmamk_f32 v11, v93, 0x3e903f40, v28
	v_fmac_f32_e32 v117, 0xbf0a6770, v29
	v_fmac_f32_e32 v121, 0xbf68dda4, v25
	v_dual_add_f32 v7, v178, v7 :: v_dual_fmamk_f32 v196, v49, 0x3ed4b147, v119
	v_add_f32_e32 v10, v36, v10
	v_mul_f32_e32 v36, 0xbf4178ce, v96
	s_delay_alu instid0(VALU_DEP_3) | instskip(SKIP_1) | instid1(VALU_DEP_4)
	v_dual_fmac_f32 v28, 0xbe903f40, v93 :: v_dual_add_f32 v193, v90, v196
	v_fmamk_f32 v196, v55, 0xbf27a4f4, v197
	v_dual_add_f32 v8, v8, v10 :: v_dual_add_f32 v15, v90, v21
	s_delay_alu instid0(VALU_DEP_2) | instskip(NEXT) | instid1(VALU_DEP_2)
	v_add_f32_e32 v18, v196, v193
	v_dual_add_f32 v8, v27, v8 :: v_dual_fmamk_f32 v193, v94, 0xbf75a155, v198
	v_fmamk_f32 v196, v25, 0x3f0a6770, v199
	s_delay_alu instid0(VALU_DEP_1) | instskip(SKIP_1) | instid1(VALU_DEP_2)
	v_dual_add_f32 v18, v193, v18 :: v_dual_add_f32 v193, v91, v196
	v_mul_f32_e32 v26, 0x3ed4b147, v26
	v_add_f32_e32 v18, v202, v18
	v_fmamk_f32 v178, v35, 0xbe903f40, v183
	s_delay_alu instid0(VALU_DEP_3)
	v_fmamk_f32 v196, v12, 0x3f68dda4, v26
	v_mul_f32_e32 v202, 0xbf27a4f4, v6
	v_fmac_f32_e32 v183, 0x3e903f40, v35
	v_fmac_f32_e32 v89, 0xbf7d64f0, v93
	v_dual_add_f32 v7, v178, v7 :: v_dual_fmamk_f32 v178, v29, 0xbf7d64f0, v195
	v_dual_add_f32 v193, v196, v193 :: v_dual_fmamk_f32 v196, v35, 0x3f7d64f0, v32
	v_fmac_f32_e32 v195, 0x3f7d64f0, v29
	s_delay_alu instid0(VALU_DEP_3) | instskip(NEXT) | instid1(VALU_DEP_3)
	v_dual_fmac_f32 v26, 0xbf68dda4, v12 :: v_dual_add_f32 v7, v178, v7
	v_dual_mul_f32 v178, 0x3f575c64, v51 :: v_dual_add_f32 v193, v196, v193
	v_fmac_f32_e32 v32, 0xbf7d64f0, v35
	s_delay_alu instid0(VALU_DEP_2) | instskip(NEXT) | instid1(VALU_DEP_1)
	v_fmamk_f32 v200, v93, 0xbf0a6770, v178
	v_dual_fmac_f32 v178, 0x3f0a6770, v93 :: v_dual_add_f32 v7, v200, v7
	v_mul_f32_e32 v200, 0x3f0a6770, v100
	s_delay_alu instid0(VALU_DEP_1) | instskip(SKIP_3) | instid1(VALU_DEP_4)
	v_fmamk_f32 v6, v102, 0x3f575c64, v200
	v_fmamk_f32 v23, v29, 0x3f4178ce, v202
	v_fmac_f32_e32 v199, 0xbf0a6770, v25
	v_fmac_f32_e32 v202, 0xbf4178ce, v29
	v_add_f32_e32 v6, v6, v18
	s_delay_alu instid0(VALU_DEP_4) | instskip(NEXT) | instid1(VALU_DEP_1)
	v_dual_add_f32 v18, v23, v193 :: v_dual_mul_f32 v23, 0xbf68dda4, v54
	v_fmamk_f32 v21, v55, 0x3ed4b147, v23
	s_delay_alu instid0(VALU_DEP_1)
	v_add_f32_e32 v13, v21, v15
	v_add_f32_e32 v15, v39, v9
	v_fmamk_f32 v21, v94, 0xbe11bafb, v31
	v_add_f32_e32 v9, v11, v18
	v_add_f32_e32 v18, v91, v24
	v_fma_f32 v24, 0xbf27a4f4, v102, -v177
	s_delay_alu instid0(VALU_DEP_4) | instskip(SKIP_3) | instid1(VALU_DEP_4)
	v_dual_add_f32 v11, v48, v15 :: v_dual_add_f32 v10, v21, v13
	v_fmamk_f32 v13, v98, 0xbf27a4f4, v36
	v_mul_f32_e32 v21, 0xbe903f40, v100
	v_add_f32_e32 v15, v22, v8
	v_add_f32_e32 v11, v33, v11
	v_fma_f32 v22, 0x3ed4b147, v94, -v120
	s_delay_alu instid0(VALU_DEP_4) | instskip(NEXT) | instid1(VALU_DEP_1)
	v_dual_add_f32 v10, v13, v10 :: v_dual_fmamk_f32 v13, v102, 0xbf75a155, v21
	v_dual_add_f32 v11, v30, v11 :: v_dual_add_f32 v8, v13, v10
	v_fma_f32 v13, 0xbf75a155, v49, -v50
	s_delay_alu instid0(VALU_DEP_2) | instskip(SKIP_3) | instid1(VALU_DEP_4)
	v_add_f32_e32 v10, v17, v11
	v_add_f32_e32 v11, v20, v15
	;; [unrolled: 1-line block ×3, first 2 shown]
	v_fma_f32 v20, 0xbf75a155, v55, -v118
	v_dual_add_f32 v13, v90, v13 :: v_dual_add_f32 v10, v19, v10
	v_add_f32_e32 v19, v91, v110
	v_fmac_f32_e32 v97, 0xbf4178ce, v25
	v_fma_f32 v16, 0x3f575c64, v55, -v88
	v_add_f32_e32 v15, v34, v15
	v_add_f32_e32 v25, v91, v199
	;; [unrolled: 1-line block ×3, first 2 shown]
	v_fma_f32 v18, 0xbe11bafb, v55, -v107
	v_add_f32_e32 v13, v16, v13
	v_fma_f32 v16, 0xbf27a4f4, v94, -v95
	v_add_f32_e32 v14, v14, v15
	v_add_f32_e32 v19, v114, v19
	v_fma_f32 v21, 0xbf75a155, v102, -v21
	s_delay_alu instid0(VALU_DEP_4) | instskip(SKIP_1) | instid1(VALU_DEP_4)
	v_add_f32_e32 v13, v16, v13
	v_fma_f32 v16, 0x3ed4b147, v98, -v99
	v_add_f32_e32 v19, v117, v19
	v_add_f32_e32 v17, v91, v97
	s_delay_alu instid0(VALU_DEP_3) | instskip(SKIP_1) | instid1(VALU_DEP_3)
	v_add_f32_e32 v13, v16, v13
	v_fma_f32 v16, 0xbe11bafb, v102, -v103
	v_add_f32_e32 v15, v101, v17
	v_fma_f32 v17, 0xbf27a4f4, v49, -v105
	s_delay_alu instid0(VALU_DEP_3) | instskip(NEXT) | instid1(VALU_DEP_3)
	v_add_f32_e32 v13, v16, v13
	v_add_f32_e32 v15, v104, v15
	s_delay_alu instid0(VALU_DEP_3) | instskip(NEXT) | instid1(VALU_DEP_2)
	v_add_f32_e32 v17, v90, v17
	v_add_f32_e32 v15, v106, v15
	s_delay_alu instid0(VALU_DEP_2) | instskip(SKIP_1) | instid1(VALU_DEP_3)
	v_add_f32_e32 v17, v18, v17
	v_fma_f32 v18, 0x3f575c64, v94, -v109
	v_add_f32_e32 v16, v108, v15
	v_fma_f32 v15, 0xbe11bafb, v49, -v115
	s_delay_alu instid0(VALU_DEP_3) | instskip(SKIP_1) | instid1(VALU_DEP_3)
	v_add_f32_e32 v17, v18, v17
	v_fma_f32 v18, 0xbf75a155, v98, -v111
	v_add_f32_e32 v15, v90, v15
	s_delay_alu instid0(VALU_DEP_2) | instskip(SKIP_1) | instid1(VALU_DEP_1)
	v_add_f32_e32 v17, v18, v17
	v_fma_f32 v18, 0x3ed4b147, v102, -v113
	v_dual_add_f32 v20, v20, v15 :: v_dual_add_f32 v15, v18, v17
	v_fma_f32 v18, 0x3f575c64, v98, -v122
	s_delay_alu instid0(VALU_DEP_2) | instskip(SKIP_2) | instid1(VALU_DEP_3)
	v_add_f32_e32 v17, v22, v20
	v_fma_f32 v22, 0x3ed4b147, v49, -v119
	v_add_f32_e32 v20, v91, v121
	v_dual_add_f32 v17, v18, v17 :: v_dual_add_f32 v18, v116, v19
	s_delay_alu instid0(VALU_DEP_3) | instskip(SKIP_1) | instid1(VALU_DEP_3)
	v_add_f32_e32 v19, v90, v22
	v_fma_f32 v22, 0xbf27a4f4, v55, -v197
	v_dual_add_f32 v20, v123, v20 :: v_dual_add_f32 v17, v24, v17
	v_fma_f32 v24, 0x3f575c64, v49, -v38
	s_delay_alu instid0(VALU_DEP_3) | instskip(SKIP_1) | instid1(VALU_DEP_4)
	v_add_f32_e32 v19, v22, v19
	v_fma_f32 v22, 0xbf75a155, v94, -v198
	v_add_f32_e32 v20, v183, v20
	v_add_f32_e32 v14, v89, v14
	s_delay_alu instid0(VALU_DEP_3)
	v_add_f32_e32 v12, v22, v19
	v_add_f32_e32 v19, v90, v24
	v_fma_f32 v22, 0x3ed4b147, v55, -v23
	v_fma_f32 v23, 0xbe11bafb, v98, -v201
	v_add_f32_e32 v24, v26, v25
	v_add_f32_e32 v20, v195, v20
	v_fma_f32 v25, 0x3f575c64, v102, -v200
	s_delay_alu instid0(VALU_DEP_4) | instskip(NEXT) | instid1(VALU_DEP_4)
	v_dual_add_f32 v19, v22, v19 :: v_dual_add_f32 v12, v23, v12
	v_add_f32_e32 v23, v32, v24
	scratch_load_b32 v24, off, off th:TH_LOAD_LU ; 4-byte Folded Reload
	v_fma_f32 v22, 0xbe11bafb, v94, -v31
	v_add_f32_e32 v20, v178, v20
	v_add_f32_e32 v23, v202, v23
	s_delay_alu instid0(VALU_DEP_3) | instskip(SKIP_1) | instid1(VALU_DEP_1)
	v_add_f32_e32 v19, v22, v19
	v_fma_f32 v22, 0xbf27a4f4, v98, -v36
	v_dual_add_f32 v26, v22, v19 :: v_dual_add_f32 v19, v25, v12
	s_delay_alu instid0(VALU_DEP_1) | instskip(SKIP_2) | instid1(VALU_DEP_1)
	v_dual_add_f32 v22, v28, v23 :: v_dual_add_f32 v21, v21, v26
	s_wait_loadcnt 0x0
	v_mul_u32_u24_e32 v24, 0x42, v24
	v_add_nc_u32_e32 v24, v24, v182
	s_delay_alu instid0(VALU_DEP_1)
	v_lshl_add_u32 v24, v24, 3, v181
	ds_store_2addr_b64 v24, v[10:11], v[8:9] offset1:6
	ds_store_2addr_b64 v24, v[6:7], v[4:5] offset0:12 offset1:18
	ds_store_2addr_b64 v24, v[2:3], v[0:1] offset0:24 offset1:30
	;; [unrolled: 1-line block ×4, first 2 shown]
	ds_store_b64 v24, v[21:22] offset:480
.LBB0_9:
	s_wait_alu 0xfffe
	s_or_b32 exec_lo, exec_lo, s2
	v_add_nc_u32_e32 v1, 0x1000, v180
	global_wb scope:SCOPE_SE
	s_wait_dscnt 0x0
	s_barrier_signal -1
	s_barrier_wait -1
	global_inv scope:SCOPE_SE
	ds_load_2addr_b64 v[4:7], v1 offset0:16 offset1:82
	v_add_nc_u32_e32 v3, 0x1800, v180
	s_mov_b32 s2, 0x2b18ff23
	s_mov_b32 s3, 0x3f4b951e
	s_wait_dscnt 0x0
	v_mul_f32_e32 v38, v166, v6
	v_mul_f32_e32 v36, v166, v7
	ds_load_2addr_b64 v[8:11], v1 offset0:148 offset1:214
	ds_load_2addr_b64 v[12:15], v3 offset0:24 offset1:90
	v_add_nc_u32_e32 v2, 0x800, v180
	v_add_nc_u32_e32 v0, 0x2000, v180
	ds_load_2addr_b64 v[16:19], v180 offset1:66
	v_fma_f32 v7, v165, v7, -v38
	s_wait_dscnt 0x2
	v_mul_f32_e32 v55, v176, v11
	v_mul_f32_e32 v39, v166, v9
	ds_load_2addr_b64 v[20:23], v180 offset0:132 offset1:198
	ds_load_2addr_b64 v[24:27], v2 offset0:8 offset1:74
	;; [unrolled: 1-line block ×5, first 2 shown]
	s_wait_dscnt 0x6
	v_dual_mul_f32 v54, v166, v8 :: v_dual_mul_f32 v89, v172, v13
	v_dual_mul_f32 v88, v176, v10 :: v_dual_fmac_f32 v39, v165, v8
	v_dual_mul_f32 v90, v172, v12 :: v_dual_fmac_f32 v55, v175, v10
	s_delay_alu instid0(VALU_DEP_3) | instskip(NEXT) | instid1(VALU_DEP_4)
	v_dual_fmac_f32 v36, v165, v6 :: v_dual_fmac_f32 v89, v171, v12
	v_fma_f32 v9, v165, v9, -v54
	s_delay_alu instid0(VALU_DEP_4)
	v_fma_f32 v38, v175, v11, -v88
	v_mul_f32_e32 v54, v174, v15
	v_fma_f32 v90, v171, v13, -v90
	global_wb scope:SCOPE_SE
	s_wait_dscnt 0x0
	v_sub_f32_e32 v7, v17, v7
	s_barrier_signal -1
	v_sub_f32_e32 v9, v19, v9
	s_barrier_wait -1
	v_mul_f32_e32 v88, v170, v29
	v_fma_f32 v11, v17, 2.0, -v7
	v_dual_mul_f32 v93, v164, v49 :: v_dual_mul_f32 v6, v174, v14
	v_fmac_f32_e32 v54, v173, v14
	s_delay_alu instid0(VALU_DEP_4) | instskip(NEXT) | instid1(VALU_DEP_3)
	v_dual_fmac_f32 v88, v169, v28 :: v_dual_sub_f32 v17, v23, v90
	v_fmac_f32_e32 v93, v163, v48
	s_delay_alu instid0(VALU_DEP_4) | instskip(SKIP_4) | instid1(VALU_DEP_4)
	v_fma_f32 v91, v173, v15, -v6
	v_dual_mul_f32 v6, v170, v28 :: v_dual_sub_f32 v15, v21, v38
	v_mul_f32_e32 v8, v168, v30
	v_fma_f32 v13, v19, 2.0, -v9
	v_mul_f32_e32 v10, v162, v50
	v_fma_f32 v29, v169, v29, -v6
	v_mul_f32_e32 v92, v168, v31
	v_fma_f32 v19, v21, 2.0, -v15
	v_fma_f32 v21, v23, 2.0, -v17
	v_sub_f32_e32 v23, v25, v91
	v_sub_f32_e32 v29, v27, v29
	v_fma_f32 v31, v167, v31, -v8
	v_mul_f32_e32 v6, v164, v48
	v_sub_f32_e32 v8, v18, v39
	v_sub_f32_e32 v14, v20, v55
	s_delay_alu instid0(VALU_DEP_4) | instskip(NEXT) | instid1(VALU_DEP_4)
	v_dual_sub_f32 v28, v26, v88 :: v_dual_sub_f32 v31, v33, v31
	v_fma_f32 v49, v163, v49, -v6
	v_sub_f32_e32 v6, v16, v36
	v_mul_f32_e32 v48, v162, v51
	v_fma_f32 v36, v161, v51, -v10
	v_fmac_f32_e32 v92, v167, v30
	v_sub_f32_e32 v39, v35, v49
	v_fma_f32 v10, v16, 2.0, -v6
	v_sub_f32_e32 v16, v22, v89
	v_fmac_f32_e32 v48, v161, v50
	v_fma_f32 v12, v18, 2.0, -v8
	v_fma_f32 v18, v20, 2.0, -v14
	v_sub_f32_e32 v49, v5, v36
	v_fma_f32 v20, v22, 2.0, -v16
	v_sub_f32_e32 v22, v24, v54
	v_sub_f32_e32 v30, v32, v92
	v_add_nc_u32_e32 v36, 0x800, v191
	v_sub_f32_e32 v38, v34, v93
	v_add_nc_u32_e32 v50, 0x800, v192
	v_sub_f32_e32 v48, v4, v48
	v_fma_f32 v24, v24, 2.0, -v22
	v_fma_f32 v25, v25, 2.0, -v23
	global_inv scope:SCOPE_SE
	ds_store_2addr_b64 v180, v[10:11], v[6:7] offset1:66
	ds_store_2addr_b64 v180, v[12:13], v[8:9] offset0:132 offset1:198
	ds_store_2addr_b64 v36, v[18:19], v[14:15] offset0:8 offset1:74
	;; [unrolled: 1-line block ×3, first 2 shown]
	v_add_nc_u32_e32 v6, 0x1000, v190
	v_fma_f32 v26, v26, 2.0, -v28
	v_fma_f32 v27, v27, 2.0, -v29
	v_add_nc_u32_e32 v7, 0x1000, v189
	v_fma_f32 v32, v32, 2.0, -v30
	v_fma_f32 v33, v33, 2.0, -v31
	;; [unrolled: 3-line block ×4, first 2 shown]
	v_add_nc_u32_e32 v10, 0x2000, v186
	ds_store_2addr_b64 v6, v[24:25], v[22:23] offset0:16 offset1:82
	ds_store_2addr_b64 v7, v[26:27], v[28:29] offset0:148 offset1:214
	;; [unrolled: 1-line block ×5, first 2 shown]
	global_wb scope:SCOPE_SE
	s_wait_dscnt 0x0
	s_barrier_signal -1
	s_barrier_wait -1
	global_inv scope:SCOPE_SE
	ds_load_2addr_b64 v[4:7], v2 offset0:140 offset1:206
	ds_load_2addr_b64 v[8:11], v3 offset0:24 offset1:90
	ds_load_2addr_b64 v[12:15], v180 offset1:66
	ds_load_2addr_b64 v[16:19], v1 offset0:16 offset1:82
	ds_load_2addr_b64 v[20:23], v180 offset0:132 offset1:198
	;; [unrolled: 1-line block ×6, first 2 shown]
	global_wb scope:SCOPE_SE
	s_wait_dscnt 0x0
	s_barrier_signal -1
	s_barrier_wait -1
	global_inv scope:SCOPE_SE
	v_mul_f32_e32 v38, v61, v4
	v_mul_f32_e32 v36, v61, v5
	;; [unrolled: 1-line block ×4, first 2 shown]
	s_delay_alu instid0(VALU_DEP_4) | instskip(NEXT) | instid1(VALU_DEP_3)
	v_fma_f32 v5, v60, v5, -v38
	v_dual_mul_f32 v38, v57, v7 :: v_dual_fmac_f32 v39, v62, v8
	s_delay_alu instid0(VALU_DEP_3) | instskip(SKIP_1) | instid1(VALU_DEP_3)
	v_fmac_f32_e32 v88, v60, v16
	v_mul_f32_e32 v54, v59, v11
	v_fmac_f32_e32 v38, v56, v6
	v_fmac_f32_e32 v36, v60, v4
	v_mul_f32_e32 v4, v63, v8
	v_mul_f32_e32 v8, v57, v6
	v_dual_mul_f32 v6, v61, v16 :: v_dual_mul_f32 v61, v63, v25
	s_delay_alu instid0(VALU_DEP_3) | instskip(SKIP_1) | instid1(VALU_DEP_3)
	v_fma_f32 v9, v62, v9, -v4
	v_mul_f32_e32 v4, v59, v10
	v_fma_f32 v17, v60, v17, -v6
	s_delay_alu instid0(VALU_DEP_4) | instskip(SKIP_1) | instid1(VALU_DEP_4)
	v_dual_mul_f32 v60, v57, v19 :: v_dual_fmac_f32 v61, v62, v24
	v_fma_f32 v55, v56, v7, -v8
	v_fma_f32 v11, v58, v11, -v4
	v_add_f32_e32 v7, v12, v36
	s_delay_alu instid0(VALU_DEP_4) | instskip(SKIP_1) | instid1(VALU_DEP_4)
	v_fmac_f32_e32 v60, v56, v18
	v_mul_f32_e32 v4, v63, v24
	v_sub_f32_e32 v16, v55, v11
	s_delay_alu instid0(VALU_DEP_2) | instskip(SKIP_2) | instid1(VALU_DEP_2)
	v_fma_f32 v24, v62, v25, -v4
	v_mul_f32_e32 v4, v59, v26
	v_mul_f32_e32 v25, v59, v27
	v_fma_f32 v27, v58, v27, -v4
	v_mul_f32_e32 v6, v57, v18
	v_mul_f32_e32 v57, v45, v33
	s_delay_alu instid0(VALU_DEP_4) | instskip(NEXT) | instid1(VALU_DEP_3)
	v_dual_fmac_f32 v25, v58, v26 :: v_dual_add_f32 v26, v17, v24
	v_fma_f32 v56, v56, v19, -v6
	v_mul_f32_e32 v6, v45, v32
	s_delay_alu instid0(VALU_DEP_4) | instskip(SKIP_2) | instid1(VALU_DEP_4)
	v_fmac_f32_e32 v57, v44, v32
	v_mul_f32_e32 v45, v47, v49
	v_dual_add_f32 v19, v20, v88 :: v_dual_fmac_f32 v54, v58, v10
	v_fma_f32 v33, v44, v33, -v6
	v_mul_f32_e32 v44, v41, v35
	v_mul_f32_e32 v4, v47, v48
	v_dual_fmac_f32 v45, v46, v48 :: v_dual_sub_f32 v10, v5, v9
	v_sub_f32_e32 v18, v38, v54
	s_delay_alu instid0(VALU_DEP_4)
	v_fmac_f32_e32 v44, v40, v34
	v_mul_f32_e32 v6, v41, v34
	v_fma_f32 v41, v46, v49, -v4
	v_mul_f32_e32 v46, v43, v51
	v_mul_f32_e32 v4, v43, v50
	v_sub_f32_e32 v32, v17, v24
	v_fma_f32 v40, v40, v35, -v6
	v_add_f32_e32 v6, v36, v39
	v_fmac_f32_e32 v46, v42, v50
	v_fma_f32 v42, v42, v51, -v4
	v_add_f32_e32 v8, v5, v9
	v_sub_f32_e32 v35, v60, v25
	v_fma_f32 v4, -0.5, v6, v12
	v_dual_add_f32 v6, v7, v39 :: v_dual_add_f32 v7, v13, v5
	s_delay_alu instid0(VALU_DEP_4) | instskip(SKIP_1) | instid1(VALU_DEP_4)
	v_fma_f32 v5, -0.5, v8, v13
	v_dual_add_f32 v13, v14, v38 :: v_dual_sub_f32 v12, v36, v39
	v_fmamk_f32 v8, v10, 0xbf5db3d7, v4
	v_fmac_f32_e32 v4, 0x3f5db3d7, v10
	v_dual_add_f32 v10, v38, v54 :: v_dual_add_f32 v7, v7, v9
	s_delay_alu instid0(VALU_DEP_4) | instskip(SKIP_1) | instid1(VALU_DEP_3)
	v_fmamk_f32 v9, v12, 0x3f5db3d7, v5
	v_dual_fmac_f32 v5, 0xbf5db3d7, v12 :: v_dual_add_f32 v12, v55, v11
	v_fma_f32 v14, -0.5, v10, v14
	v_dual_add_f32 v10, v13, v54 :: v_dual_add_f32 v13, v15, v55
	s_delay_alu instid0(VALU_DEP_3) | instskip(NEXT) | instid1(VALU_DEP_3)
	v_dual_sub_f32 v34, v56, v27 :: v_dual_fmac_f32 v15, -0.5, v12
	v_fmamk_f32 v12, v16, 0xbf5db3d7, v14
	v_fmac_f32_e32 v14, 0x3f5db3d7, v16
	s_delay_alu instid0(VALU_DEP_4) | instskip(NEXT) | instid1(VALU_DEP_4)
	v_dual_add_f32 v16, v88, v61 :: v_dual_add_f32 v11, v13, v11
	v_fmamk_f32 v13, v18, 0x3f5db3d7, v15
	v_dual_fmac_f32 v15, 0xbf5db3d7, v18 :: v_dual_add_f32 v18, v19, v61
	s_delay_alu instid0(VALU_DEP_3)
	v_fma_f32 v16, -0.5, v16, v20
	v_add_f32_e32 v19, v21, v17
	v_fma_f32 v17, -0.5, v26, v21
	v_sub_f32_e32 v26, v88, v61
	v_sub_f32_e32 v36, v33, v41
	v_fmamk_f32 v20, v32, 0xbf5db3d7, v16
	v_fmac_f32_e32 v16, 0x3f5db3d7, v32
	v_dual_add_f32 v19, v19, v24 :: v_dual_add_f32 v24, v60, v25
	v_fmamk_f32 v21, v26, 0x3f5db3d7, v17
	v_dual_add_f32 v32, v22, v60 :: v_dual_fmac_f32 v17, 0xbf5db3d7, v26
	v_add_f32_e32 v26, v56, v27
	s_delay_alu instid0(VALU_DEP_4) | instskip(SKIP_1) | instid1(VALU_DEP_4)
	v_fma_f32 v22, -0.5, v24, v22
	v_sub_f32_e32 v38, v57, v45
	v_add_f32_e32 v24, v32, v25
	s_delay_alu instid0(VALU_DEP_4) | instskip(NEXT) | instid1(VALU_DEP_4)
	v_dual_add_f32 v32, v23, v56 :: v_dual_fmac_f32 v23, -0.5, v26
	v_fmamk_f32 v26, v34, 0xbf5db3d7, v22
	v_fmac_f32_e32 v22, 0x3f5db3d7, v34
	v_add_f32_e32 v34, v28, v57
	s_delay_alu instid0(VALU_DEP_4)
	v_add_f32_e32 v25, v32, v27
	v_fmamk_f32 v27, v35, 0x3f5db3d7, v23
	v_fmac_f32_e32 v23, 0xbf5db3d7, v35
	v_add_f32_e32 v35, v33, v41
	v_add_f32_e32 v33, v29, v33
	;; [unrolled: 1-line block ×3, first 2 shown]
	s_delay_alu instid0(VALU_DEP_3) | instskip(NEXT) | instid1(VALU_DEP_3)
	v_fma_f32 v29, -0.5, v35, v29
	v_add_f32_e32 v33, v33, v41
	s_delay_alu instid0(VALU_DEP_3)
	v_fma_f32 v28, -0.5, v32, v28
	v_add_f32_e32 v41, v31, v40
	v_add_f32_e32 v39, v30, v44
	v_fmamk_f32 v35, v38, 0x3f5db3d7, v29
	v_fmac_f32_e32 v29, 0xbf5db3d7, v38
	v_add_f32_e32 v38, v40, v42
	v_dual_sub_f32 v43, v44, v46 :: v_dual_add_f32 v32, v34, v45
	v_fmamk_f32 v34, v36, 0xbf5db3d7, v28
	s_delay_alu instid0(VALU_DEP_3)
	v_dual_fmac_f32 v28, 0x3f5db3d7, v36 :: v_dual_fmac_f32 v31, -0.5, v38
	v_add_f32_e32 v38, v39, v46
	v_add_f32_e32 v39, v41, v42
	ds_store_2addr_b64 v180, v[6:7], v[10:11] offset1:66
	ds_store_2addr_b64 v180, v[8:9], v[12:13] offset0:132 offset1:198
	ds_store_2addr_b64 v2, v[4:5], v[14:15] offset0:8 offset1:74
	v_add_nc_u32_e32 v4, 0x1800, v185
	v_dual_fmamk_f32 v41, v43, 0x3f5db3d7, v31 :: v_dual_add_f32 v36, v44, v46
	v_fmac_f32_e32 v31, 0xbf5db3d7, v43
	v_add_nc_u32_e32 v5, 0x1800, v184
	ds_store_2addr_b64 v2, v[18:19], v[24:25] offset0:140 offset1:206
	v_fma_f32 v30, -0.5, v36, v30
	v_sub_f32_e32 v36, v40, v42
	s_delay_alu instid0(VALU_DEP_1)
	v_fmamk_f32 v40, v36, 0xbf5db3d7, v30
	v_fmac_f32_e32 v30, 0x3f5db3d7, v36
	ds_store_2addr_b64 v1, v[20:21], v[26:27] offset0:16 offset1:82
	ds_store_2addr_b64 v1, v[16:17], v[22:23] offset0:148 offset1:214
	;; [unrolled: 1-line block ×3, first 2 shown]
	ds_store_b64 v185, v[28:29] offset:8448
	ds_store_2addr_b64 v5, v[38:39], v[40:41] offset0:24 offset1:156
	ds_store_b64 v184, v[30:31] offset:8448
	global_wb scope:SCOPE_SE
	s_wait_dscnt 0x0
	s_barrier_signal -1
	s_barrier_wait -1
	global_inv scope:SCOPE_SE
	ds_load_2addr_b64 v[4:7], v2 offset0:140 offset1:206
	ds_load_2addr_b64 v[8:11], v3 offset0:24 offset1:90
	ds_load_2addr_b64 v[12:15], v180 offset1:66
	ds_load_2addr_b64 v[16:19], v1 offset0:16 offset1:82
	ds_load_2addr_b64 v[20:23], v180 offset0:132 offset1:198
	;; [unrolled: 1-line block ×6, first 2 shown]
	s_wait_dscnt 0x8
	v_mul_f32_e32 v36, v69, v5
	s_wait_dscnt 0x7
	v_dual_mul_f32 v42, v69, v4 :: v_dual_mul_f32 v43, v71, v9
	v_mul_f32_e32 v44, v87, v11
	s_wait_dscnt 0x5
	v_mul_f32_e32 v46, v81, v17
	v_fmac_f32_e32 v36, v68, v4
	v_mul_f32_e32 v4, v71, v8
	v_fma_f32 v5, v68, v5, -v42
	v_dual_mul_f32 v42, v85, v7 :: v_dual_fmac_f32 v43, v70, v8
	v_mul_f32_e32 v8, v85, v6
	s_delay_alu instid0(VALU_DEP_4) | instskip(SKIP_1) | instid1(VALU_DEP_4)
	v_fma_f32 v9, v70, v9, -v4
	v_mul_f32_e32 v4, v87, v10
	v_fmac_f32_e32 v42, v84, v6
	s_wait_dscnt 0x3
	v_dual_mul_f32 v6, v81, v16 :: v_dual_mul_f32 v47, v83, v25
	s_wait_dscnt 0x1
	v_mul_f32_e32 v50, v73, v33
	v_fma_f32 v11, v86, v11, -v4
	v_mul_f32_e32 v4, v83, v24
	v_fma_f32 v17, v80, v17, -v6
	v_dual_mul_f32 v6, v77, v18 :: v_dual_fmac_f32 v47, v82, v24
	s_wait_dscnt 0x0
	v_mul_f32_e32 v51, v75, v39
	v_fma_f32 v24, v82, v25, -v4
	v_mul_f32_e32 v4, v79, v26
	v_fma_f32 v49, v76, v19, -v6
	v_dual_mul_f32 v6, v73, v32 :: v_dual_mul_f32 v25, v79, v27
	v_fmac_f32_e32 v51, v74, v38
	s_delay_alu instid0(VALU_DEP_4) | instskip(SKIP_1) | instid1(VALU_DEP_4)
	v_fma_f32 v27, v78, v27, -v4
	v_mul_f32_e32 v4, v75, v38
	v_fma_f32 v33, v72, v33, -v6
	v_mul_f32_e32 v6, v65, v34
	v_fma_f32 v45, v84, v7, -v8
	v_fmac_f32_e32 v44, v86, v10
	v_fma_f32 v38, v74, v39, -v4
	v_mul_f32_e32 v4, v67, v40
	v_fma_f32 v55, v64, v35, -v6
	v_dual_add_f32 v6, v36, v43 :: v_dual_mul_f32 v39, v67, v41
	v_add_f32_e32 v7, v12, v36
	s_delay_alu instid0(VALU_DEP_4) | instskip(SKIP_1) | instid1(VALU_DEP_4)
	v_fma_f32 v41, v66, v41, -v4
	v_add_f32_e32 v8, v5, v9
	v_fma_f32 v4, -0.5, v6, v12
	v_sub_f32_e32 v10, v5, v9
	v_dual_add_f32 v6, v7, v43 :: v_dual_add_f32 v7, v13, v5
	s_delay_alu instid0(VALU_DEP_4) | instskip(SKIP_1) | instid1(VALU_DEP_4)
	v_fma_f32 v5, -0.5, v8, v13
	v_sub_f32_e32 v12, v36, v43
	v_fmamk_f32 v8, v10, 0xbf5db3d7, v4
	v_fmac_f32_e32 v4, 0x3f5db3d7, v10
	v_add_f32_e32 v10, v42, v44
	v_fmac_f32_e32 v46, v80, v16
	v_dual_mul_f32 v48, v77, v19 :: v_dual_add_f32 v7, v7, v9
	v_fmamk_f32 v9, v12, 0x3f5db3d7, v5
	v_add_f32_e32 v13, v14, v42
	v_dual_fmac_f32 v5, 0xbf5db3d7, v12 :: v_dual_add_f32 v12, v45, v11
	v_fma_f32 v14, -0.5, v10, v14
	v_sub_f32_e32 v16, v45, v11
	v_fmac_f32_e32 v48, v76, v18
	v_dual_add_f32 v10, v13, v44 :: v_dual_add_f32 v13, v15, v45
	v_fmac_f32_e32 v15, -0.5, v12
	v_sub_f32_e32 v18, v42, v44
	v_fmamk_f32 v12, v16, 0xbf5db3d7, v14
	v_fmac_f32_e32 v14, 0x3f5db3d7, v16
	v_dual_add_f32 v16, v46, v47 :: v_dual_add_f32 v19, v20, v46
	v_dual_fmac_f32 v25, v78, v26 :: v_dual_fmac_f32 v50, v72, v32
	v_add_f32_e32 v11, v13, v11
	v_fmamk_f32 v13, v18, 0x3f5db3d7, v15
	v_dual_fmac_f32 v15, 0xbf5db3d7, v18 :: v_dual_add_f32 v26, v17, v24
	v_fma_f32 v16, -0.5, v16, v20
	v_sub_f32_e32 v32, v17, v24
	v_dual_add_f32 v18, v19, v47 :: v_dual_add_f32 v19, v21, v17
	s_delay_alu instid0(VALU_DEP_4) | instskip(SKIP_1) | instid1(VALU_DEP_4)
	v_fma_f32 v17, -0.5, v26, v21
	v_sub_f32_e32 v26, v46, v47
	v_fmamk_f32 v20, v32, 0xbf5db3d7, v16
	v_fmac_f32_e32 v16, 0x3f5db3d7, v32
	v_dual_add_f32 v19, v19, v24 :: v_dual_add_f32 v24, v48, v25
	v_add_f32_e32 v32, v22, v48
	v_dual_mul_f32 v54, v65, v35 :: v_dual_fmamk_f32 v21, v26, 0x3f5db3d7, v17
	v_dual_fmac_f32 v17, 0xbf5db3d7, v26 :: v_dual_add_f32 v26, v49, v27
	s_delay_alu instid0(VALU_DEP_4) | instskip(NEXT) | instid1(VALU_DEP_4)
	v_fma_f32 v22, -0.5, v24, v22
	v_add_f32_e32 v24, v32, v25
	v_add_f32_e32 v32, v23, v49
	v_fmac_f32_e32 v54, v64, v34
	v_dual_sub_f32 v34, v49, v27 :: v_dual_fmac_f32 v23, -0.5, v26
	v_sub_f32_e32 v35, v48, v25
	s_delay_alu instid0(VALU_DEP_4)
	v_add_f32_e32 v25, v32, v27
	v_add_f32_e32 v32, v50, v51
	v_fmac_f32_e32 v39, v66, v40
	v_fmamk_f32 v26, v34, 0xbf5db3d7, v22
	v_dual_fmac_f32 v22, 0x3f5db3d7, v34 :: v_dual_fmamk_f32 v27, v35, 0x3f5db3d7, v23
	v_dual_add_f32 v34, v28, v50 :: v_dual_fmac_f32 v23, 0xbf5db3d7, v35
	v_add_f32_e32 v35, v33, v38
	v_fma_f32 v28, -0.5, v32, v28
	v_sub_f32_e32 v36, v33, v38
	s_delay_alu instid0(VALU_DEP_4) | instskip(NEXT) | instid1(VALU_DEP_4)
	v_dual_add_f32 v33, v29, v33 :: v_dual_add_f32 v32, v34, v51
	v_fma_f32 v29, -0.5, v35, v29
	v_sub_f32_e32 v40, v50, v51
	s_delay_alu instid0(VALU_DEP_4) | instskip(NEXT) | instid1(VALU_DEP_4)
	v_fmamk_f32 v34, v36, 0xbf5db3d7, v28
	v_dual_fmac_f32 v28, 0x3f5db3d7, v36 :: v_dual_add_f32 v33, v33, v38
	v_add_f32_e32 v36, v54, v39
	s_delay_alu instid0(VALU_DEP_4) | instskip(SKIP_1) | instid1(VALU_DEP_3)
	v_dual_add_f32 v38, v55, v41 :: v_dual_fmamk_f32 v35, v40, 0x3f5db3d7, v29
	v_dual_fmac_f32 v29, 0xbf5db3d7, v40 :: v_dual_add_f32 v40, v30, v54
	v_fma_f32 v30, -0.5, v36, v30
	v_sub_f32_e32 v36, v55, v41
	s_delay_alu instid0(VALU_DEP_4) | instskip(SKIP_2) | instid1(VALU_DEP_4)
	v_dual_add_f32 v42, v31, v55 :: v_dual_fmac_f32 v31, -0.5, v38
	v_sub_f32_e32 v43, v54, v39
	v_add_f32_e32 v38, v40, v39
	v_fmamk_f32 v40, v36, 0xbf5db3d7, v30
	s_delay_alu instid0(VALU_DEP_4) | instskip(NEXT) | instid1(VALU_DEP_4)
	v_dual_fmac_f32 v30, 0x3f5db3d7, v36 :: v_dual_add_f32 v39, v42, v41
	v_fmamk_f32 v41, v43, 0x3f5db3d7, v31
	v_fmac_f32_e32 v31, 0xbf5db3d7, v43
	ds_store_2addr_b64 v180, v[6:7], v[10:11] offset1:66
	ds_store_2addr_b64 v2, v[8:9], v[12:13] offset0:140 offset1:206
	ds_store_2addr_b64 v3, v[4:5], v[14:15] offset0:24 offset1:90
	;; [unrolled: 1-line block ×3, first 2 shown]
	ds_store_b64 v194, v[20:21] offset:3168
	ds_store_b64 v194, v[16:17] offset:6336
	;; [unrolled: 1-line block ×4, first 2 shown]
	ds_store_2addr_b64 v2, v[32:33], v[38:39] offset0:8 offset1:74
	ds_store_b64 v52, v[34:35] offset:3168
	ds_store_b64 v52, v[28:29] offset:6336
	;; [unrolled: 1-line block ×4, first 2 shown]
	global_wb scope:SCOPE_SE
	s_wait_dscnt 0x0
	s_barrier_signal -1
	s_barrier_wait -1
	global_inv scope:SCOPE_SE
	ds_load_2addr_b64 v[4:7], v180 offset1:66
	v_mad_co_u64_u32 v[26:27], null, s6, v130, 0
	v_mad_co_u64_u32 v[36:37], null, s4, v179, 0
	s_wait_dscnt 0x0
	v_mul_f32_e32 v8, v160, v5
	s_delay_alu instid0(VALU_DEP_1) | instskip(SKIP_1) | instid1(VALU_DEP_2)
	v_fmac_f32_e32 v8, v159, v4
	v_mul_f32_e32 v4, v160, v4
	v_cvt_f64_f32_e32 v[24:25], v8
	s_delay_alu instid0(VALU_DEP_2)
	v_fma_f32 v4, v159, v5, -v4
	ds_load_2addr_b64 v[8:11], v180 offset0:132 offset1:198
	ds_load_2addr_b64 v[12:15], v2 offset0:140 offset1:206
	;; [unrolled: 1-line block ×4, first 2 shown]
	v_cvt_f64_f32_e32 v[4:5], v4
	s_wait_dscnt 0x3
	v_mul_f32_e32 v28, v154, v11
	v_mul_f32_e32 v29, v154, v10
	s_wait_dscnt 0x2
	v_mul_f32_e32 v30, v158, v12
	v_mul_f32_e32 v32, v158, v13
	s_wait_dscnt 0x0
	v_mul_f32_e32 v52, v134, v23
	v_fmac_f32_e32 v28, v153, v10
	v_fma_f32 v10, v153, v11, -v29
	v_fma_f32 v11, v157, v13, -v30
	v_fmac_f32_e32 v32, v157, v12
	v_mul_f32_e32 v12, v152, v19
	v_cvt_f64_f32_e32 v[28:29], v28
	v_cvt_f64_f32_e32 v[30:31], v10
	;; [unrolled: 1-line block ×3, first 2 shown]
	v_mul_f32_e32 v10, v152, v18
	v_mul_f32_e32 v11, v156, v21
	v_dual_mul_f32 v13, v156, v20 :: v_dual_fmac_f32 v12, v151, v18
	v_cvt_f64_f32_e32 v[32:33], v32
	s_delay_alu instid0(VALU_DEP_4) | instskip(NEXT) | instid1(VALU_DEP_4)
	v_fma_f32 v38, v151, v19, -v10
	v_fmac_f32_e32 v11, v155, v20
	s_delay_alu instid0(VALU_DEP_4)
	v_fma_f32 v13, v155, v21, -v13
	v_mov_b32_e32 v10, v27
	s_wait_alu 0xfffe
	v_mul_f64_e32 v[24:25], s[2:3], v[24:25]
	v_cvt_f64_f32_e32 v[20:21], v38
	v_cvt_f64_f32_e32 v[38:39], v11
	v_mov_b32_e32 v11, v37
	v_mul_f64_e32 v[4:5], s[2:3], v[4:5]
	v_cvt_f64_f32_e32 v[18:19], v12
	v_cvt_f64_f32_e32 v[40:41], v13
	v_fmac_f32_e32 v52, v133, v22
	v_mad_co_u64_u32 v[12:13], null, s7, v130, v[10:11]
	v_mul_f32_e32 v22, v134, v22
	v_mul_f32_e32 v56, v142, v9
	v_dual_mul_f32 v57, v142, v8 :: v_dual_mul_f32 v60, v140, v17
	v_mul_f32_e32 v61, v140, v16
	s_delay_alu instid0(VALU_DEP_4)
	v_fma_f32 v22, v133, v23, -v22
	v_mad_co_u64_u32 v[10:11], null, s5, v179, v[11:12]
	v_dual_mov_b32 v27, v12 :: v_dual_fmac_f32 v56, v141, v8
	v_fma_f32 v57, v141, v9, -v57
	v_fmac_f32_e32 v60, v139, v16
	v_fma_f32 v61, v139, v17, -v61
	s_delay_alu instid0(VALU_DEP_4)
	v_lshlrev_b64_e32 v[26:27], 3, v[26:27]
	v_mov_b32_e32 v37, v10
	ds_load_2addr_b64 v[10:13], v3 offset0:156 offset1:222
	v_mul_f64_e32 v[28:29], s[2:3], v[28:29]
	v_mul_f64_e32 v[30:31], s[2:3], v[30:31]
	v_lshlrev_b64_e32 v[36:37], 3, v[36:37]
	v_add_co_u32 v42, vcc_lo, s0, v26
	s_wait_alu 0xfffd
	v_add_co_ci_u32_e32 v43, vcc_lo, s1, v27, vcc_lo
	v_mul_f64_e32 v[26:27], s[2:3], v[32:33]
	v_mul_f64_e32 v[32:33], s[2:3], v[34:35]
	v_add_co_u32 v34, vcc_lo, v42, v36
	v_cvt_f32_f64_e32 v24, v[24:25]
	s_wait_alu 0xfffd
	v_add_co_ci_u32_e32 v35, vcc_lo, v43, v37, vcc_lo
	v_mul_f64_e32 v[42:43], s[2:3], v[20:21]
	v_cvt_f32_f64_e32 v25, v[4:5]
	v_mul_f64_e32 v[36:37], s[2:3], v[18:19]
	ds_load_2addr_b64 v[2:5], v2 offset0:8 offset1:74
	s_wait_dscnt 0x1
	v_mul_f32_e32 v18, v144, v13
	v_mul_f32_e32 v19, v144, v12
	;; [unrolled: 1-line block ×4, first 2 shown]
	v_mul_f64_e32 v[38:39], s[2:3], v[38:39]
	v_fmac_f32_e32 v18, v143, v12
	v_fma_f32 v19, v143, v13, -v19
	v_mul_f64_e32 v[40:41], s[2:3], v[40:41]
	v_fmac_f32_e32 v20, v147, v6
	v_mul_f32_e32 v64, v132, v11
	v_cvt_f64_f32_e32 v[12:13], v18
	v_fma_f32 v18, v147, v7, -v21
	v_cvt_f64_f32_e32 v[6:7], v19
	v_cvt_f64_f32_e32 v[44:45], v20
	v_mul_f32_e32 v65, v132, v10
	v_fmac_f32_e32 v64, v131, v10
	v_cvt_f64_f32_e32 v[46:47], v18
	v_mul_f32_e32 v18, v129, v15
	s_mul_u64 s[0:1], s[4:5], 0x630
	s_wait_dscnt 0x0
	v_mul_f32_e32 v48, v146, v3
	v_cvt_f32_f64_e32 v28, v[28:29]
	v_cvt_f32_f64_e32 v29, v[30:31]
	v_fmac_f32_e32 v18, v128, v14
	v_mul_f32_e32 v14, v129, v14
	v_fmac_f32_e32 v48, v145, v2
	v_mul_f32_e32 v2, v146, v2
	v_mul_f32_e32 v58, v127, v5
	v_cvt_f64_f32_e32 v[30:31], v18
	ds_load_2addr_b64 v[18:21], v1 offset0:148 offset1:214
	v_cvt_f64_f32_e32 v[48:49], v48
	v_fma_f32 v2, v145, v3, -v2
	v_fma_f32 v53, v128, v15, -v14
	v_mul_f32_e32 v59, v127, v4
	v_fmac_f32_e32 v58, v126, v4
	v_cvt_f32_f64_e32 v26, v[26:27]
	global_store_b64 v[34:35], v[24:25], off
	v_cvt_f64_f32_e32 v[24:25], v2
	ds_load_2addr_b64 v[0:3], v0 offset0:32 offset1:98
	v_fma_f32 v59, v126, v5, -v59
	v_cvt_f64_f32_e32 v[4:5], v58
	s_wait_alu 0xfffe
	v_add_co_u32 v34, vcc_lo, v34, s0
	s_wait_alu 0xfffd
	v_add_co_ci_u32_e32 v35, vcc_lo, s1, v35, vcc_lo
	v_cvt_f64_f32_e32 v[16:17], v59
	v_cvt_f64_f32_e32 v[58:59], v60
	v_cvt_f64_f32_e32 v[60:61], v61
	v_cvt_f32_f64_e32 v27, v[32:33]
	s_wait_dscnt 0x1
	v_mul_f32_e32 v50, v150, v19
	v_mul_f32_e32 v51, v150, v18
	v_mul_f64_e32 v[12:13], s[2:3], v[12:13]
	v_mul_f64_e32 v[6:7], s[2:3], v[6:7]
	v_mul_f32_e32 v62, v125, v21
	v_fmac_f32_e32 v50, v149, v18
	v_fma_f32 v51, v149, v19, -v51
	v_cvt_f64_f32_e32 v[18:19], v53
	v_cvt_f64_f32_e32 v[52:53], v52
	s_wait_dscnt 0x0
	v_mul_f32_e32 v54, v136, v1
	v_mul_f32_e32 v55, v136, v0
	v_fmac_f32_e32 v62, v124, v20
	v_mul_f32_e32 v20, v125, v20
	v_mul_f32_e32 v66, v138, v3
	v_fmac_f32_e32 v54, v135, v0
	v_fma_f32 v23, v135, v1, -v55
	v_cvt_f64_f32_e32 v[0:1], v22
	v_mul_f64_e32 v[14:15], s[2:3], v[30:31]
	v_cvt_f64_f32_e32 v[30:31], v50
	v_cvt_f64_f32_e32 v[50:51], v51
	v_mul_f32_e32 v67, v138, v2
	v_cvt_f64_f32_e32 v[8:9], v54
	v_cvt_f64_f32_e32 v[22:23], v23
	v_fma_f32 v20, v124, v21, -v20
	v_fma_f32 v21, v131, v11, -v65
	v_fmac_f32_e32 v66, v137, v2
	v_fma_f32 v67, v137, v3, -v67
	v_mul_f64_e32 v[44:45], s[2:3], v[44:45]
	v_mul_f64_e32 v[46:47], s[2:3], v[46:47]
	;; [unrolled: 1-line block ×4, first 2 shown]
	v_cvt_f64_f32_e32 v[54:55], v56
	v_cvt_f64_f32_e32 v[56:57], v57
	;; [unrolled: 1-line block ×8, first 2 shown]
	v_add_co_u32 v32, vcc_lo, v34, s0
	s_wait_alu 0xfffd
	v_add_co_ci_u32_e32 v33, vcc_lo, s1, v35, vcc_lo
	v_cvt_f32_f64_e32 v36, v[36:37]
	v_cvt_f32_f64_e32 v37, v[42:43]
	v_mul_f64_e32 v[18:19], s[2:3], v[18:19]
	v_add_co_u32 v42, vcc_lo, v32, s0
	v_cvt_f32_f64_e32 v12, v[12:13]
	v_cvt_f32_f64_e32 v13, v[6:7]
	v_mul_f64_e32 v[6:7], s[2:3], v[52:53]
	s_wait_alu 0xfffd
	v_add_co_ci_u32_e32 v43, vcc_lo, s1, v33, vcc_lo
	v_cvt_f32_f64_e32 v38, v[38:39]
	v_mul_f64_e32 v[0:1], s[2:3], v[0:1]
	v_cvt_f32_f64_e32 v39, v[40:41]
	v_mul_f64_e32 v[30:31], s[2:3], v[30:31]
	v_mul_f64_e32 v[50:51], s[2:3], v[50:51]
	v_add_co_u32 v40, vcc_lo, v42, s0
	s_wait_alu 0xfffd
	v_add_co_ci_u32_e32 v41, vcc_lo, s1, v43, vcc_lo
	v_mul_f64_e32 v[8:9], s[2:3], v[8:9]
	s_delay_alu instid0(VALU_DEP_3)
	v_add_co_u32 v68, vcc_lo, v40, s0
	v_mul_f64_e32 v[22:23], s[2:3], v[22:23]
	s_wait_alu 0xfffd
	v_add_co_ci_u32_e32 v69, vcc_lo, s1, v41, vcc_lo
	v_cvt_f32_f64_e32 v44, v[44:45]
	v_cvt_f32_f64_e32 v45, v[46:47]
	;; [unrolled: 1-line block ×4, first 2 shown]
	v_mul_f64_e32 v[24:25], s[2:3], v[54:55]
	v_mul_f64_e32 v[48:49], s[2:3], v[56:57]
	;; [unrolled: 1-line block ×10, first 2 shown]
	v_mad_co_u64_u32 v[70:71], null, 0xffffe320, s4, v[68:69]
	v_mul_f64_e32 v[60:61], s[2:3], v[64:65]
	v_mul_f64_e32 v[62:63], s[2:3], v[66:67]
	s_mulk_i32 s5, 0xe320
	v_cvt_f32_f64_e32 v14, v[14:15]
	s_wait_alu 0xfffe
	s_sub_co_i32 s5, s5, s4
	v_cvt_f32_f64_e32 v15, v[18:19]
	s_wait_alu 0xfffe
	v_add_nc_u32_e32 v71, s5, v71
	v_add_co_u32 v52, vcc_lo, v70, s0
	v_cvt_f32_f64_e32 v6, v[6:7]
	v_cvt_f32_f64_e32 v30, v[30:31]
	s_wait_alu 0xfffd
	v_add_co_ci_u32_e32 v53, vcc_lo, s1, v71, vcc_lo
	v_add_co_u32 v18, vcc_lo, v52, s0
	v_cvt_f32_f64_e32 v31, v[50:51]
	s_wait_alu 0xfffd
	s_delay_alu instid0(VALU_DEP_3) | instskip(NEXT) | instid1(VALU_DEP_3)
	v_add_co_ci_u32_e32 v19, vcc_lo, s1, v53, vcc_lo
	v_add_co_u32 v50, vcc_lo, v18, s0
	v_cvt_f32_f64_e32 v7, v[0:1]
	s_wait_alu 0xfffd
	s_delay_alu instid0(VALU_DEP_3) | instskip(NEXT) | instid1(VALU_DEP_3)
	;; [unrolled: 5-line block ×3, first 2 shown]
	v_add_co_ci_u32_e32 v1, vcc_lo, s1, v51, vcc_lo
	v_add_co_u32 v64, vcc_lo, v0, s0
	v_cvt_f32_f64_e32 v9, v[22:23]
	s_wait_alu 0xfffd
	s_delay_alu instid0(VALU_DEP_3)
	v_add_co_ci_u32_e32 v65, vcc_lo, s1, v1, vcc_lo
	v_cvt_f32_f64_e32 v22, v[24:25]
	v_cvt_f32_f64_e32 v23, v[48:49]
	;; [unrolled: 1-line block ×10, first 2 shown]
	v_mad_co_u64_u32 v[24:25], null, 0xffffe320, s4, v[64:65]
	v_cvt_f32_f64_e32 v10, v[60:61]
	v_cvt_f32_f64_e32 v11, v[62:63]
	s_clause 0x3
	global_store_b64 v[34:35], v[28:29], off
	global_store_b64 v[32:33], v[26:27], off
	;; [unrolled: 1-line block ×8, first 2 shown]
	v_add_nc_u32_e32 v25, s5, v25
	v_add_co_u32 v12, vcc_lo, v24, s0
	global_store_b64 v[50:51], v[30:31], off
	s_wait_alu 0xfffd
	v_add_co_ci_u32_e32 v13, vcc_lo, s1, v25, vcc_lo
	v_add_co_u32 v14, vcc_lo, v12, s0
	global_store_b64 v[0:1], v[6:7], off
	s_wait_alu 0xfffd
	v_add_co_ci_u32_e32 v15, vcc_lo, s1, v13, vcc_lo
	v_add_co_u32 v0, vcc_lo, v14, s0
	s_wait_alu 0xfffd
	s_delay_alu instid0(VALU_DEP_2) | instskip(NEXT) | instid1(VALU_DEP_2)
	v_add_co_ci_u32_e32 v1, vcc_lo, s1, v15, vcc_lo
	v_add_co_u32 v6, vcc_lo, v0, s0
	global_store_b64 v[64:65], v[8:9], off
	s_wait_alu 0xfffd
	v_add_co_ci_u32_e32 v7, vcc_lo, s1, v1, vcc_lo
	v_add_co_u32 v8, vcc_lo, v6, s0
	global_store_b64 v[24:25], v[22:23], off
	s_wait_alu 0xfffd
	v_add_co_ci_u32_e32 v9, vcc_lo, s1, v7, vcc_lo
	global_store_b64 v[12:13], v[4:5], off
	global_store_b64 v[14:15], v[16:17], off
	;; [unrolled: 1-line block ×5, first 2 shown]
.LBB0_10:
	s_nop 0
	s_sendmsg sendmsg(MSG_DEALLOC_VGPRS)
	s_endpgm
	.section	.rodata,"a",@progbits
	.p2align	6, 0x0
	.amdhsa_kernel bluestein_single_fwd_len1188_dim1_sp_op_CI_CI
		.amdhsa_group_segment_fixed_size 28512
		.amdhsa_private_segment_fixed_size 8
		.amdhsa_kernarg_size 104
		.amdhsa_user_sgpr_count 2
		.amdhsa_user_sgpr_dispatch_ptr 0
		.amdhsa_user_sgpr_queue_ptr 0
		.amdhsa_user_sgpr_kernarg_segment_ptr 1
		.amdhsa_user_sgpr_dispatch_id 0
		.amdhsa_user_sgpr_private_segment_size 0
		.amdhsa_wavefront_size32 1
		.amdhsa_uses_dynamic_stack 0
		.amdhsa_enable_private_segment 1
		.amdhsa_system_sgpr_workgroup_id_x 1
		.amdhsa_system_sgpr_workgroup_id_y 0
		.amdhsa_system_sgpr_workgroup_id_z 0
		.amdhsa_system_sgpr_workgroup_info 0
		.amdhsa_system_vgpr_workitem_id 0
		.amdhsa_next_free_vgpr 256
		.amdhsa_next_free_sgpr 20
		.amdhsa_reserve_vcc 1
		.amdhsa_float_round_mode_32 0
		.amdhsa_float_round_mode_16_64 0
		.amdhsa_float_denorm_mode_32 3
		.amdhsa_float_denorm_mode_16_64 3
		.amdhsa_fp16_overflow 0
		.amdhsa_workgroup_processor_mode 1
		.amdhsa_memory_ordered 1
		.amdhsa_forward_progress 0
		.amdhsa_round_robin_scheduling 0
		.amdhsa_exception_fp_ieee_invalid_op 0
		.amdhsa_exception_fp_denorm_src 0
		.amdhsa_exception_fp_ieee_div_zero 0
		.amdhsa_exception_fp_ieee_overflow 0
		.amdhsa_exception_fp_ieee_underflow 0
		.amdhsa_exception_fp_ieee_inexact 0
		.amdhsa_exception_int_div_zero 0
	.end_amdhsa_kernel
	.text
.Lfunc_end0:
	.size	bluestein_single_fwd_len1188_dim1_sp_op_CI_CI, .Lfunc_end0-bluestein_single_fwd_len1188_dim1_sp_op_CI_CI
                                        ; -- End function
	.section	.AMDGPU.csdata,"",@progbits
; Kernel info:
; codeLenInByte = 22768
; NumSgprs: 22
; NumVgprs: 256
; ScratchSize: 8
; MemoryBound: 0
; FloatMode: 240
; IeeeMode: 1
; LDSByteSize: 28512 bytes/workgroup (compile time only)
; SGPRBlocks: 2
; VGPRBlocks: 31
; NumSGPRsForWavesPerEU: 22
; NumVGPRsForWavesPerEU: 256
; Occupancy: 5
; WaveLimiterHint : 1
; COMPUTE_PGM_RSRC2:SCRATCH_EN: 1
; COMPUTE_PGM_RSRC2:USER_SGPR: 2
; COMPUTE_PGM_RSRC2:TRAP_HANDLER: 0
; COMPUTE_PGM_RSRC2:TGID_X_EN: 1
; COMPUTE_PGM_RSRC2:TGID_Y_EN: 0
; COMPUTE_PGM_RSRC2:TGID_Z_EN: 0
; COMPUTE_PGM_RSRC2:TIDIG_COMP_CNT: 0
	.text
	.p2alignl 7, 3214868480
	.fill 96, 4, 3214868480
	.type	__hip_cuid_3a6af69caabcd50f,@object ; @__hip_cuid_3a6af69caabcd50f
	.section	.bss,"aw",@nobits
	.globl	__hip_cuid_3a6af69caabcd50f
__hip_cuid_3a6af69caabcd50f:
	.byte	0                               ; 0x0
	.size	__hip_cuid_3a6af69caabcd50f, 1

	.ident	"AMD clang version 19.0.0git (https://github.com/RadeonOpenCompute/llvm-project roc-6.4.0 25133 c7fe45cf4b819c5991fe208aaa96edf142730f1d)"
	.section	".note.GNU-stack","",@progbits
	.addrsig
	.addrsig_sym __hip_cuid_3a6af69caabcd50f
	.amdgpu_metadata
---
amdhsa.kernels:
  - .args:
      - .actual_access:  read_only
        .address_space:  global
        .offset:         0
        .size:           8
        .value_kind:     global_buffer
      - .actual_access:  read_only
        .address_space:  global
        .offset:         8
        .size:           8
        .value_kind:     global_buffer
      - .actual_access:  read_only
        .address_space:  global
        .offset:         16
        .size:           8
        .value_kind:     global_buffer
      - .actual_access:  read_only
        .address_space:  global
        .offset:         24
        .size:           8
        .value_kind:     global_buffer
      - .actual_access:  read_only
        .address_space:  global
        .offset:         32
        .size:           8
        .value_kind:     global_buffer
      - .offset:         40
        .size:           8
        .value_kind:     by_value
      - .address_space:  global
        .offset:         48
        .size:           8
        .value_kind:     global_buffer
      - .address_space:  global
        .offset:         56
        .size:           8
        .value_kind:     global_buffer
      - .address_space:  global
        .offset:         64
        .size:           8
        .value_kind:     global_buffer
      - .address_space:  global
        .offset:         72
        .size:           8
        .value_kind:     global_buffer
      - .offset:         80
        .size:           4
        .value_kind:     by_value
      - .address_space:  global
        .offset:         88
        .size:           8
        .value_kind:     global_buffer
      - .address_space:  global
        .offset:         96
        .size:           8
        .value_kind:     global_buffer
    .group_segment_fixed_size: 28512
    .kernarg_segment_align: 8
    .kernarg_segment_size: 104
    .language:       OpenCL C
    .language_version:
      - 2
      - 0
    .max_flat_workgroup_size: 198
    .name:           bluestein_single_fwd_len1188_dim1_sp_op_CI_CI
    .private_segment_fixed_size: 8
    .sgpr_count:     22
    .sgpr_spill_count: 0
    .symbol:         bluestein_single_fwd_len1188_dim1_sp_op_CI_CI.kd
    .uniform_work_group_size: 1
    .uses_dynamic_stack: false
    .vgpr_count:     256
    .vgpr_spill_count: 1
    .wavefront_size: 32
    .workgroup_processor_mode: 1
amdhsa.target:   amdgcn-amd-amdhsa--gfx1201
amdhsa.version:
  - 1
  - 2
...

	.end_amdgpu_metadata
